;; amdgpu-corpus repo=ROCm/rocFFT kind=compiled arch=gfx1201 opt=O3
	.text
	.amdgcn_target "amdgcn-amd-amdhsa--gfx1201"
	.amdhsa_code_object_version 6
	.protected	fft_rtc_back_len2040_factors_17_4_3_10_wgs_170_tpt_170_halfLds_sp_op_CI_CI_unitstride_sbrr_R2C_dirReg ; -- Begin function fft_rtc_back_len2040_factors_17_4_3_10_wgs_170_tpt_170_halfLds_sp_op_CI_CI_unitstride_sbrr_R2C_dirReg
	.globl	fft_rtc_back_len2040_factors_17_4_3_10_wgs_170_tpt_170_halfLds_sp_op_CI_CI_unitstride_sbrr_R2C_dirReg
	.p2align	8
	.type	fft_rtc_back_len2040_factors_17_4_3_10_wgs_170_tpt_170_halfLds_sp_op_CI_CI_unitstride_sbrr_R2C_dirReg,@function
fft_rtc_back_len2040_factors_17_4_3_10_wgs_170_tpt_170_halfLds_sp_op_CI_CI_unitstride_sbrr_R2C_dirReg: ; @fft_rtc_back_len2040_factors_17_4_3_10_wgs_170_tpt_170_halfLds_sp_op_CI_CI_unitstride_sbrr_R2C_dirReg
; %bb.0:
	s_clause 0x2
	s_load_b128 s[8:11], s[0:1], 0x0
	s_load_b128 s[4:7], s[0:1], 0x58
	;; [unrolled: 1-line block ×3, first 2 shown]
	v_mul_u32_u24_e32 v1, 0x182, v0
	v_mov_b32_e32 v3, 0
	s_delay_alu instid0(VALU_DEP_2) | instskip(NEXT) | instid1(VALU_DEP_1)
	v_lshrrev_b32_e32 v1, 16, v1
	v_add_nc_u32_e32 v5, ttmp9, v1
	v_mov_b32_e32 v1, 0
	v_mov_b32_e32 v2, 0
	;; [unrolled: 1-line block ×3, first 2 shown]
	s_wait_kmcnt 0x0
	v_cmp_lt_u64_e64 s2, s[10:11], 2
	s_delay_alu instid0(VALU_DEP_1)
	s_and_b32 vcc_lo, exec_lo, s2
	s_cbranch_vccnz .LBB0_8
; %bb.1:
	s_load_b64 s[2:3], s[0:1], 0x10
	v_mov_b32_e32 v1, 0
	v_mov_b32_e32 v2, 0
	s_add_nc_u64 s[16:17], s[14:15], 8
	s_add_nc_u64 s[18:19], s[12:13], 8
	s_mov_b64 s[20:21], 1
	s_delay_alu instid0(VALU_DEP_1)
	v_dual_mov_b32 v45, v2 :: v_dual_mov_b32 v44, v1
	s_wait_kmcnt 0x0
	s_add_nc_u64 s[22:23], s[2:3], 8
	s_mov_b32 s3, 0
.LBB0_2:                                ; =>This Inner Loop Header: Depth=1
	s_load_b64 s[24:25], s[22:23], 0x0
                                        ; implicit-def: $vgpr48_vgpr49
	s_mov_b32 s2, exec_lo
	s_wait_kmcnt 0x0
	v_or_b32_e32 v4, s25, v6
	s_delay_alu instid0(VALU_DEP_1)
	v_cmpx_ne_u64_e32 0, v[3:4]
	s_wait_alu 0xfffe
	s_xor_b32 s26, exec_lo, s2
	s_cbranch_execz .LBB0_4
; %bb.3:                                ;   in Loop: Header=BB0_2 Depth=1
	s_cvt_f32_u32 s2, s24
	s_cvt_f32_u32 s27, s25
	s_sub_nc_u64 s[30:31], 0, s[24:25]
	s_wait_alu 0xfffe
	s_delay_alu instid0(SALU_CYCLE_1) | instskip(SKIP_1) | instid1(SALU_CYCLE_2)
	s_fmamk_f32 s2, s27, 0x4f800000, s2
	s_wait_alu 0xfffe
	v_s_rcp_f32 s2, s2
	s_delay_alu instid0(TRANS32_DEP_1) | instskip(SKIP_1) | instid1(SALU_CYCLE_2)
	s_mul_f32 s2, s2, 0x5f7ffffc
	s_wait_alu 0xfffe
	s_mul_f32 s27, s2, 0x2f800000
	s_wait_alu 0xfffe
	s_delay_alu instid0(SALU_CYCLE_2) | instskip(SKIP_1) | instid1(SALU_CYCLE_2)
	s_trunc_f32 s27, s27
	s_wait_alu 0xfffe
	s_fmamk_f32 s2, s27, 0xcf800000, s2
	s_cvt_u32_f32 s29, s27
	s_wait_alu 0xfffe
	s_delay_alu instid0(SALU_CYCLE_1) | instskip(SKIP_1) | instid1(SALU_CYCLE_2)
	s_cvt_u32_f32 s28, s2
	s_wait_alu 0xfffe
	s_mul_u64 s[34:35], s[30:31], s[28:29]
	s_wait_alu 0xfffe
	s_mul_hi_u32 s37, s28, s35
	s_mul_i32 s36, s28, s35
	s_mul_hi_u32 s2, s28, s34
	s_mul_i32 s33, s29, s34
	s_wait_alu 0xfffe
	s_add_nc_u64 s[36:37], s[2:3], s[36:37]
	s_mul_hi_u32 s27, s29, s34
	s_mul_hi_u32 s38, s29, s35
	s_add_co_u32 s2, s36, s33
	s_wait_alu 0xfffe
	s_add_co_ci_u32 s2, s37, s27
	s_mul_i32 s34, s29, s35
	s_add_co_ci_u32 s35, s38, 0
	s_wait_alu 0xfffe
	s_add_nc_u64 s[34:35], s[2:3], s[34:35]
	s_wait_alu 0xfffe
	v_add_co_u32 v4, s2, s28, s34
	s_delay_alu instid0(VALU_DEP_1) | instskip(SKIP_1) | instid1(VALU_DEP_1)
	s_cmp_lg_u32 s2, 0
	s_add_co_ci_u32 s29, s29, s35
	v_readfirstlane_b32 s28, v4
	s_wait_alu 0xfffe
	s_delay_alu instid0(VALU_DEP_1)
	s_mul_u64 s[30:31], s[30:31], s[28:29]
	s_wait_alu 0xfffe
	s_mul_hi_u32 s35, s28, s31
	s_mul_i32 s34, s28, s31
	s_mul_hi_u32 s2, s28, s30
	s_mul_i32 s33, s29, s30
	s_wait_alu 0xfffe
	s_add_nc_u64 s[34:35], s[2:3], s[34:35]
	s_mul_hi_u32 s27, s29, s30
	s_mul_hi_u32 s28, s29, s31
	s_wait_alu 0xfffe
	s_add_co_u32 s2, s34, s33
	s_add_co_ci_u32 s2, s35, s27
	s_mul_i32 s30, s29, s31
	s_add_co_ci_u32 s31, s28, 0
	s_wait_alu 0xfffe
	s_add_nc_u64 s[30:31], s[2:3], s[30:31]
	s_wait_alu 0xfffe
	v_add_co_u32 v4, s2, v4, s30
	s_delay_alu instid0(VALU_DEP_1) | instskip(SKIP_1) | instid1(VALU_DEP_1)
	s_cmp_lg_u32 s2, 0
	s_add_co_ci_u32 s2, s29, s31
	v_mul_hi_u32 v13, v5, v4
	s_wait_alu 0xfffe
	v_mad_co_u64_u32 v[7:8], null, v5, s2, 0
	v_mad_co_u64_u32 v[9:10], null, v6, v4, 0
	;; [unrolled: 1-line block ×3, first 2 shown]
	s_delay_alu instid0(VALU_DEP_3) | instskip(SKIP_1) | instid1(VALU_DEP_4)
	v_add_co_u32 v4, vcc_lo, v13, v7
	s_wait_alu 0xfffd
	v_add_co_ci_u32_e32 v7, vcc_lo, 0, v8, vcc_lo
	s_delay_alu instid0(VALU_DEP_2) | instskip(SKIP_1) | instid1(VALU_DEP_2)
	v_add_co_u32 v4, vcc_lo, v4, v9
	s_wait_alu 0xfffd
	v_add_co_ci_u32_e32 v4, vcc_lo, v7, v10, vcc_lo
	s_wait_alu 0xfffd
	v_add_co_ci_u32_e32 v7, vcc_lo, 0, v12, vcc_lo
	s_delay_alu instid0(VALU_DEP_2) | instskip(SKIP_1) | instid1(VALU_DEP_2)
	v_add_co_u32 v4, vcc_lo, v4, v11
	s_wait_alu 0xfffd
	v_add_co_ci_u32_e32 v9, vcc_lo, 0, v7, vcc_lo
	s_delay_alu instid0(VALU_DEP_2) | instskip(SKIP_1) | instid1(VALU_DEP_3)
	v_mul_lo_u32 v10, s25, v4
	v_mad_co_u64_u32 v[7:8], null, s24, v4, 0
	v_mul_lo_u32 v11, s24, v9
	s_delay_alu instid0(VALU_DEP_2) | instskip(NEXT) | instid1(VALU_DEP_2)
	v_sub_co_u32 v7, vcc_lo, v5, v7
	v_add3_u32 v8, v8, v11, v10
	s_delay_alu instid0(VALU_DEP_1) | instskip(SKIP_1) | instid1(VALU_DEP_1)
	v_sub_nc_u32_e32 v10, v6, v8
	s_wait_alu 0xfffd
	v_subrev_co_ci_u32_e64 v10, s2, s25, v10, vcc_lo
	v_add_co_u32 v11, s2, v4, 2
	s_wait_alu 0xf1ff
	v_add_co_ci_u32_e64 v12, s2, 0, v9, s2
	v_sub_co_u32 v13, s2, v7, s24
	v_sub_co_ci_u32_e32 v8, vcc_lo, v6, v8, vcc_lo
	s_wait_alu 0xf1ff
	v_subrev_co_ci_u32_e64 v10, s2, 0, v10, s2
	s_delay_alu instid0(VALU_DEP_3) | instskip(NEXT) | instid1(VALU_DEP_3)
	v_cmp_le_u32_e32 vcc_lo, s24, v13
	v_cmp_eq_u32_e64 s2, s25, v8
	s_wait_alu 0xfffd
	v_cndmask_b32_e64 v13, 0, -1, vcc_lo
	v_cmp_le_u32_e32 vcc_lo, s25, v10
	s_wait_alu 0xfffd
	v_cndmask_b32_e64 v14, 0, -1, vcc_lo
	v_cmp_le_u32_e32 vcc_lo, s24, v7
	;; [unrolled: 3-line block ×3, first 2 shown]
	s_wait_alu 0xfffd
	v_cndmask_b32_e64 v15, 0, -1, vcc_lo
	v_cmp_eq_u32_e32 vcc_lo, s25, v10
	s_wait_alu 0xf1ff
	s_delay_alu instid0(VALU_DEP_2)
	v_cndmask_b32_e64 v7, v15, v7, s2
	s_wait_alu 0xfffd
	v_cndmask_b32_e32 v10, v14, v13, vcc_lo
	v_add_co_u32 v13, vcc_lo, v4, 1
	s_wait_alu 0xfffd
	v_add_co_ci_u32_e32 v14, vcc_lo, 0, v9, vcc_lo
	s_delay_alu instid0(VALU_DEP_3) | instskip(SKIP_1) | instid1(VALU_DEP_2)
	v_cmp_ne_u32_e32 vcc_lo, 0, v10
	s_wait_alu 0xfffd
	v_cndmask_b32_e32 v8, v14, v12, vcc_lo
	v_cndmask_b32_e32 v10, v13, v11, vcc_lo
	v_cmp_ne_u32_e32 vcc_lo, 0, v7
	s_wait_alu 0xfffd
	s_delay_alu instid0(VALU_DEP_2)
	v_dual_cndmask_b32 v49, v9, v8 :: v_dual_cndmask_b32 v48, v4, v10
.LBB0_4:                                ;   in Loop: Header=BB0_2 Depth=1
	s_wait_alu 0xfffe
	s_and_not1_saveexec_b32 s2, s26
	s_cbranch_execz .LBB0_6
; %bb.5:                                ;   in Loop: Header=BB0_2 Depth=1
	v_cvt_f32_u32_e32 v4, s24
	s_sub_co_i32 s26, 0, s24
	v_mov_b32_e32 v49, v3
	s_delay_alu instid0(VALU_DEP_2) | instskip(NEXT) | instid1(TRANS32_DEP_1)
	v_rcp_iflag_f32_e32 v4, v4
	v_mul_f32_e32 v4, 0x4f7ffffe, v4
	s_delay_alu instid0(VALU_DEP_1) | instskip(SKIP_1) | instid1(VALU_DEP_1)
	v_cvt_u32_f32_e32 v4, v4
	s_wait_alu 0xfffe
	v_mul_lo_u32 v7, s26, v4
	s_delay_alu instid0(VALU_DEP_1) | instskip(NEXT) | instid1(VALU_DEP_1)
	v_mul_hi_u32 v7, v4, v7
	v_add_nc_u32_e32 v4, v4, v7
	s_delay_alu instid0(VALU_DEP_1) | instskip(NEXT) | instid1(VALU_DEP_1)
	v_mul_hi_u32 v4, v5, v4
	v_mul_lo_u32 v7, v4, s24
	v_add_nc_u32_e32 v8, 1, v4
	s_delay_alu instid0(VALU_DEP_2) | instskip(NEXT) | instid1(VALU_DEP_1)
	v_sub_nc_u32_e32 v7, v5, v7
	v_subrev_nc_u32_e32 v9, s24, v7
	v_cmp_le_u32_e32 vcc_lo, s24, v7
	s_wait_alu 0xfffd
	s_delay_alu instid0(VALU_DEP_2) | instskip(NEXT) | instid1(VALU_DEP_1)
	v_dual_cndmask_b32 v7, v7, v9 :: v_dual_cndmask_b32 v4, v4, v8
	v_cmp_le_u32_e32 vcc_lo, s24, v7
	s_delay_alu instid0(VALU_DEP_2) | instskip(SKIP_1) | instid1(VALU_DEP_1)
	v_add_nc_u32_e32 v8, 1, v4
	s_wait_alu 0xfffd
	v_cndmask_b32_e32 v48, v4, v8, vcc_lo
.LBB0_6:                                ;   in Loop: Header=BB0_2 Depth=1
	s_wait_alu 0xfffe
	s_or_b32 exec_lo, exec_lo, s2
	v_mul_lo_u32 v4, v49, s24
	s_delay_alu instid0(VALU_DEP_2)
	v_mul_lo_u32 v9, v48, s25
	s_load_b64 s[26:27], s[18:19], 0x0
	v_mad_co_u64_u32 v[7:8], null, v48, s24, 0
	s_load_b64 s[24:25], s[16:17], 0x0
	s_add_nc_u64 s[20:21], s[20:21], 1
	s_add_nc_u64 s[16:17], s[16:17], 8
	s_wait_alu 0xfffe
	v_cmp_ge_u64_e64 s2, s[20:21], s[10:11]
	s_add_nc_u64 s[18:19], s[18:19], 8
	s_add_nc_u64 s[22:23], s[22:23], 8
	v_add3_u32 v4, v8, v9, v4
	v_sub_co_u32 v5, vcc_lo, v5, v7
	s_wait_alu 0xfffd
	s_delay_alu instid0(VALU_DEP_2) | instskip(SKIP_2) | instid1(VALU_DEP_1)
	v_sub_co_ci_u32_e32 v4, vcc_lo, v6, v4, vcc_lo
	s_and_b32 vcc_lo, exec_lo, s2
	s_wait_kmcnt 0x0
	v_mul_lo_u32 v6, s26, v4
	v_mul_lo_u32 v7, s27, v5
	v_mad_co_u64_u32 v[1:2], null, s26, v5, v[1:2]
	v_mul_lo_u32 v4, s24, v4
	v_mul_lo_u32 v8, s25, v5
	v_mad_co_u64_u32 v[44:45], null, s24, v5, v[44:45]
	s_delay_alu instid0(VALU_DEP_4) | instskip(NEXT) | instid1(VALU_DEP_2)
	v_add3_u32 v2, v7, v2, v6
	v_add3_u32 v45, v8, v45, v4
	s_wait_alu 0xfffe
	s_cbranch_vccnz .LBB0_9
; %bb.7:                                ;   in Loop: Header=BB0_2 Depth=1
	v_dual_mov_b32 v5, v48 :: v_dual_mov_b32 v6, v49
	s_branch .LBB0_2
.LBB0_8:
	v_dual_mov_b32 v45, v2 :: v_dual_mov_b32 v44, v1
	v_dual_mov_b32 v49, v6 :: v_dual_mov_b32 v48, v5
.LBB0_9:
	s_load_b64 s[0:1], s[0:1], 0x28
	v_mul_hi_u32 v3, 0x1818182, v0
                                        ; implicit-def: $vgpr46
	s_wait_kmcnt 0x0
	s_delay_alu instid0(VALU_DEP_2) | instskip(SKIP_1) | instid1(VALU_DEP_1)
	v_cmp_gt_u64_e32 vcc_lo, s[0:1], v[48:49]
	v_cmp_le_u64_e64 s0, s[0:1], v[48:49]
	s_and_saveexec_b32 s1, s0
	s_wait_alu 0xfffe
	s_xor_b32 s0, exec_lo, s1
; %bb.10:
	s_delay_alu instid0(VALU_DEP_3) | instskip(NEXT) | instid1(VALU_DEP_1)
	v_mul_u32_u24_e32 v1, 0xaa, v3
                                        ; implicit-def: $vgpr3
	v_sub_nc_u32_e32 v46, v0, v1
                                        ; implicit-def: $vgpr0
                                        ; implicit-def: $vgpr1_vgpr2
; %bb.11:
	s_wait_alu 0xfffe
	s_or_saveexec_b32 s1, s0
	s_lshl_b64 s[2:3], s[10:11], 3
	s_wait_alu 0xfffe
	s_xor_b32 exec_lo, exec_lo, s1
	s_cbranch_execz .LBB0_13
; %bb.12:
	s_add_nc_u64 s[10:11], s[12:13], s[2:3]
	v_lshlrev_b64_e32 v[1:2], 3, v[1:2]
	s_load_b64 s[10:11], s[10:11], 0x0
	s_wait_kmcnt 0x0
	v_mul_lo_u32 v6, s11, v48
	v_mul_lo_u32 v7, s10, v49
	v_mad_co_u64_u32 v[4:5], null, s10, v48, 0
	s_delay_alu instid0(VALU_DEP_1) | instskip(SKIP_1) | instid1(VALU_DEP_2)
	v_add3_u32 v5, v5, v7, v6
	v_mul_u32_u24_e32 v6, 0xaa, v3
	v_lshlrev_b64_e32 v[3:4], 3, v[4:5]
	s_delay_alu instid0(VALU_DEP_2) | instskip(NEXT) | instid1(VALU_DEP_1)
	v_sub_nc_u32_e32 v46, v0, v6
	v_lshlrev_b32_e32 v24, 3, v46
	s_delay_alu instid0(VALU_DEP_3) | instskip(SKIP_1) | instid1(VALU_DEP_4)
	v_add_co_u32 v0, s0, s4, v3
	s_wait_alu 0xf1ff
	v_add_co_ci_u32_e64 v3, s0, s5, v4, s0
	s_delay_alu instid0(VALU_DEP_2) | instskip(SKIP_1) | instid1(VALU_DEP_2)
	v_add_co_u32 v0, s0, v0, v1
	s_wait_alu 0xf1ff
	v_add_co_ci_u32_e64 v1, s0, v3, v2, s0
	s_delay_alu instid0(VALU_DEP_2) | instskip(SKIP_1) | instid1(VALU_DEP_2)
	v_add_co_u32 v0, s0, v0, v24
	s_wait_alu 0xf1ff
	v_add_co_ci_u32_e64 v1, s0, 0, v1, s0
	s_clause 0xb
	global_load_b64 v[2:3], v[0:1], off
	global_load_b64 v[4:5], v[0:1], off offset:1360
	global_load_b64 v[6:7], v[0:1], off offset:2720
	global_load_b64 v[8:9], v[0:1], off offset:4080
	global_load_b64 v[10:11], v[0:1], off offset:5440
	global_load_b64 v[12:13], v[0:1], off offset:6800
	global_load_b64 v[14:15], v[0:1], off offset:8160
	global_load_b64 v[16:17], v[0:1], off offset:9520
	global_load_b64 v[18:19], v[0:1], off offset:10880
	global_load_b64 v[20:21], v[0:1], off offset:12240
	global_load_b64 v[22:23], v[0:1], off offset:13600
	global_load_b64 v[0:1], v[0:1], off offset:14960
	v_add_nc_u32_e32 v24, 0, v24
	s_delay_alu instid0(VALU_DEP_1)
	v_add_nc_u32_e32 v25, 0x800, v24
	v_add_nc_u32_e32 v26, 0x1400, v24
	;; [unrolled: 1-line block ×5, first 2 shown]
	s_wait_loadcnt 0xa
	ds_store_2addr_b64 v24, v[2:3], v[4:5] offset1:170
	s_wait_loadcnt 0x8
	ds_store_2addr_b64 v25, v[6:7], v[8:9] offset0:84 offset1:254
	s_wait_loadcnt 0x6
	ds_store_2addr_b64 v26, v[10:11], v[12:13] offset0:40 offset1:210
	;; [unrolled: 2-line block ×5, first 2 shown]
.LBB0_13:
	s_or_b32 exec_lo, exec_lo, s1
	v_lshl_add_u32 v58, v46, 3, 0
	global_wb scope:SCOPE_SE
	s_wait_dscnt 0x0
	s_barrier_signal -1
	s_barrier_wait -1
	global_inv scope:SCOPE_SE
	ds_load_2addr_b64 v[12:15], v58 offset1:120
	ds_load_b64 v[2:3], v58 offset:15360
	v_add_nc_u32_e32 v0, 0x400, v58
	v_add_nc_u32_e32 v59, 0x3400, v58
	;; [unrolled: 1-line block ×3, first 2 shown]
	s_add_nc_u64 s[2:3], s[14:15], s[2:3]
	s_mov_b32 s1, exec_lo
	s_wait_dscnt 0x0
	v_add_f32_e32 v54, v3, v15
	v_sub_f32_e32 v56, v15, v3
	ds_load_2addr_b64 v[40:43], v0 offset0:112 offset1:232
	ds_load_2addr_b64 v[16:19], v59 offset0:16 offset1:136
	v_add_nc_u32_e32 v1, 0x2400, v58
	v_add_nc_u32_e32 v60, 0x1400, v58
	;; [unrolled: 1-line block ×3, first 2 shown]
	v_dual_sub_f32 v62, v14, v2 :: v_dual_mul_f32 v69, 0xbeb8f4ab, v56
	v_add_f32_e32 v61, v2, v14
	v_mul_f32_e32 v93, 0xbf2c7751, v56
	v_mul_f32_e32 v165, 0xbe8c1d8e, v54
	;; [unrolled: 1-line block ×4, first 2 shown]
	s_delay_alu instid0(VALU_DEP_3) | instskip(SKIP_1) | instid1(VALU_DEP_1)
	v_fmamk_f32 v51, v62, 0xbf763a35, v165
	s_wait_dscnt 0x0
	v_dual_add_f32 v51, v13, v51 :: v_dual_add_f32 v110, v19, v41
	v_dual_sub_f32 v64, v40, v18 :: v_dual_sub_f32 v57, v41, v19
	v_sub_f32_e32 v109, v43, v17
	ds_load_2addr_b64 v[36:39], v47 offset0:96 offset1:216
	ds_load_2addr_b64 v[32:35], v60 offset0:80 offset1:200
	;; [unrolled: 1-line block ×4, first 2 shown]
	v_dual_mul_f32 v78, 0x3f3d2fb0, v110 :: v_dual_add_f32 v63, v18, v40
	v_add_f32_e32 v116, v17, v43
	v_fma_f32 v0, 0x3f6eb680, v61, -v69
	v_mul_f32_e32 v77, 0xbf2c7751, v57
	s_delay_alu instid0(VALU_DEP_4) | instskip(SKIP_4) | instid1(VALU_DEP_4)
	v_fmamk_f32 v5, v64, 0xbf2c7751, v78
	v_mul_f32_e32 v70, 0x3f6eb680, v54
	v_dual_add_f32 v65, v16, v42 :: v_dual_sub_f32 v66, v42, v16
	v_add_f32_e32 v0, v12, v0
	v_fma_f32 v6, 0x3f3d2fb0, v61, -v93
	v_fmamk_f32 v1, v62, 0xbeb8f4ab, v70
	v_add_nc_u32_e32 v4, 0x2c00, v58
	v_mul_f32_e32 v94, 0xbf7ee86f, v57
	v_mul_f32_e32 v132, 0xbf7ba420, v116
	;; [unrolled: 1-line block ×3, first 2 shown]
	v_add_f32_e32 v1, v13, v1
	ds_load_2addr_b64 v[20:23], v4 offset0:32 offset1:152
	v_fma_f32 v4, 0x3f3d2fb0, v63, -v77
	v_mul_f32_e32 v73, 0xbf65296c, v109
	s_wait_dscnt 0x1
	v_dual_sub_f32 v123, v33, v27 :: v_dual_add_f32 v126, v27, v33
	v_dual_add_f32 v127, v25, v35 :: v_dual_sub_f32 v88, v28, v30
	v_add_f32_e32 v0, v4, v0
	v_fma_f32 v4, 0x3ee437d1, v65, -v73
	s_delay_alu instid0(VALU_DEP_3) | instskip(SKIP_1) | instid1(VALU_DEP_3)
	v_dual_add_f32 v75, v26, v32 :: v_dual_mul_f32 v90, 0xbf59a7d5, v127
	v_dual_sub_f32 v125, v35, v25 :: v_dual_sub_f32 v128, v29, v31
	v_add_f32_e32 v0, v4, v0
	v_sub_f32_e32 v76, v32, v26
	v_dual_add_f32 v81, v24, v34 :: v_dual_sub_f32 v82, v34, v24
	v_add_f32_e32 v134, v31, v29
	v_dual_add_f32 v86, v30, v28 :: v_dual_mul_f32 v135, 0x3f6eb680, v126
	s_wait_dscnt 0x0
	v_dual_sub_f32 v115, v37, v23 :: v_dual_add_f32 v122, v23, v37
	v_add_f32_e32 v67, v22, v36
	v_dual_sub_f32 v119, v39, v21 :: v_dual_add_f32 v124, v21, v39
	s_delay_alu instid0(VALU_DEP_3) | instskip(SKIP_2) | instid1(VALU_DEP_4)
	v_mul_f32_e32 v79, 0xbf7ee86f, v115
	v_dual_add_f32 v1, v5, v1 :: v_dual_mul_f32 v74, 0x3ee437d1, v116
	v_mul_f32_e32 v80, 0x3dbcf732, v122
	v_dual_add_f32 v71, v20, v38 :: v_dual_mul_f32 v84, 0xbe8c1d8e, v124
	s_delay_alu instid0(VALU_DEP_4) | instskip(SKIP_3) | instid1(VALU_DEP_4)
	v_fma_f32 v4, 0x3dbcf732, v67, -v79
	v_mul_f32_e32 v83, 0xbf763a35, v119
	v_dual_fmamk_f32 v5, v66, 0xbf65296c, v74 :: v_dual_sub_f32 v68, v36, v22
	v_sub_f32_e32 v72, v38, v20
	v_add_f32_e32 v0, v4, v0
	s_delay_alu instid0(VALU_DEP_4)
	v_fma_f32 v4, 0xbe8c1d8e, v71, -v83
	v_mul_f32_e32 v85, 0xbf4c4adb, v123
	v_add_f32_e32 v1, v5, v1
	v_fmamk_f32 v5, v68, 0xbf7ee86f, v80
	v_dual_mul_f32 v91, 0xbe3c28d5, v128 :: v_dual_mul_f32 v96, 0xbe3c28d5, v115
	v_add_f32_e32 v0, v4, v0
	v_fma_f32 v4, 0xbf1a4643, v75, -v85
	s_delay_alu instid0(VALU_DEP_4) | instskip(SKIP_4) | instid1(VALU_DEP_4)
	v_add_f32_e32 v1, v5, v1
	v_fmamk_f32 v5, v72, 0xbf763a35, v84
	v_mul_f32_e32 v87, 0xbf1a4643, v126
	v_fma_f32 v8, 0xbf7ba420, v86, -v91
	v_dual_add_f32 v0, v4, v0 :: v_dual_mul_f32 v89, 0xbf06c442, v125
	v_add_f32_e32 v1, v5, v1
	s_delay_alu instid0(VALU_DEP_4)
	v_fmamk_f32 v5, v76, 0xbf4c4adb, v87
	v_mul_f32_e32 v147, 0xbf7ba420, v110
	v_mul_f32_e32 v144, 0xbe3c28d5, v57
	v_fma_f32 v4, 0xbf59a7d5, v81, -v89
	v_mul_f32_e32 v138, 0x3f763a35, v109
	v_add_f32_e32 v1, v5, v1
	v_mul_f32_e32 v151, 0x3ee437d1, v124
	v_mul_f32_e32 v140, 0xbf65296c, v119
	v_add_f32_e32 v0, v4, v0
	v_add_f32_e32 v4, v12, v6
	v_fma_f32 v6, 0x3dbcf732, v63, -v94
	v_fmamk_f32 v7, v62, 0xbf2c7751, v104
	s_delay_alu instid0(VALU_DEP_4) | instskip(NEXT) | instid1(VALU_DEP_3)
	v_dual_mul_f32 v105, 0x3dbcf732, v110 :: v_dual_add_f32 v0, v8, v0
	v_dual_mul_f32 v137, 0xbf59a7d5, v134 :: v_dual_add_f32 v4, v6, v4
	v_fmamk_f32 v5, v82, 0xbf06c442, v90
	v_mul_f32_e32 v92, 0xbf7ba420, v134
	s_delay_alu instid0(VALU_DEP_4)
	v_fmamk_f32 v6, v64, 0xbf7ee86f, v105
	v_mul_f32_e32 v141, 0xbf06c442, v123
	v_dual_mul_f32 v145, 0x3f2c7751, v128 :: v_dual_mul_f32 v160, 0x3f2c7751, v109
	v_add_f32_e32 v1, v5, v1
	v_dual_add_f32 v5, v13, v7 :: v_dual_mul_f32 v106, 0xbf1a4643, v116
	v_mul_f32_e32 v169, 0xbf59a7d5, v110
	v_dual_mul_f32 v153, 0x3f3d2fb0, v134 :: v_dual_mul_f32 v166, 0x3f3d2fb0, v116
	s_delay_alu instid0(VALU_DEP_3) | instskip(NEXT) | instid1(VALU_DEP_4)
	v_add_f32_e32 v5, v6, v5
	v_dual_mul_f32 v95, 0xbf4c4adb, v109 :: v_dual_fmamk_f32 v6, v66, 0xbf4c4adb, v106
	s_delay_alu instid0(VALU_DEP_4) | instskip(SKIP_2) | instid1(VALU_DEP_4)
	v_fmamk_f32 v53, v64, 0x3f06c442, v169
	v_mul_f32_e32 v167, 0x3ee437d1, v122
	v_mul_f32_e32 v168, 0xbf7ba420, v124
	v_fma_f32 v7, 0xbf1a4643, v65, -v95
	v_mul_f32_e32 v158, 0xbe3c28d5, v119
	v_add_f32_e32 v51, v53, v51
	v_mul_f32_e32 v155, 0xbf4c4adb, v128
	s_delay_alu instid0(VALU_DEP_4)
	v_dual_fmamk_f32 v55, v88, 0x3f2c7751, v153 :: v_dual_add_f32 v4, v7, v4
	v_fma_f32 v7, 0xbf7ba420, v67, -v96
	v_mul_f32_e32 v101, 0xbf7ba420, v122
	v_mul_f32_e32 v117, 0x3f763a35, v115
	v_fma_f32 v170, 0xbf1a4643, v86, -v155
	global_wb scope:SCOPE_SE
	v_dual_add_f32 v4, v7, v4 :: v_dual_add_f32 v5, v6, v5
	v_fmamk_f32 v6, v68, 0xbe3c28d5, v101
	v_mul_f32_e32 v100, 0xbf59a7d5, v124
	s_barrier_signal -1
	s_barrier_wait -1
	global_inv scope:SCOPE_SE
	v_add_f32_e32 v5, v6, v5
	v_dual_mul_f32 v97, 0x3f06c442, v119 :: v_dual_fmamk_f32 v6, v72, 0x3f06c442, v100
	v_mul_f32_e32 v102, 0xbe8c1d8e, v126
	v_mul_f32_e32 v103, 0x3f65296c, v125
	;; [unrolled: 1-line block ×3, first 2 shown]
	s_delay_alu instid0(VALU_DEP_4)
	v_fma_f32 v7, 0xbf59a7d5, v71, -v97
	v_add_f32_e32 v5, v6, v5
	v_fmamk_f32 v9, v88, 0xbe3c28d5, v92
	v_fmamk_f32 v6, v76, 0x3f763a35, v102
	v_mul_f32_e32 v120, 0xbf65296c, v56
	v_add_f32_e32 v4, v7, v4
	s_delay_alu instid0(VALU_DEP_4) | instskip(NEXT) | instid1(VALU_DEP_4)
	v_dual_mul_f32 v98, 0x3f763a35, v123 :: v_dual_add_f32 v1, v9, v1
	v_add_f32_e32 v5, v6, v5
	v_fma_f32 v6, 0x3ee437d1, v81, -v103
	v_mul_f32_e32 v164, 0x3dbcf732, v126
	s_delay_alu instid0(VALU_DEP_4) | instskip(SKIP_2) | instid1(VALU_DEP_3)
	v_fma_f32 v7, 0xbe8c1d8e, v75, -v98
	v_mul_f32_e32 v156, 0xbeb8f4ab, v125
	v_mul_f32_e32 v162, 0xbf1a4643, v134
	v_dual_add_f32 v4, v7, v4 :: v_dual_mul_f32 v107, 0x3ee437d1, v127
	v_fma_f32 v7, 0x3ee437d1, v61, -v120
	s_delay_alu instid0(VALU_DEP_2) | instskip(NEXT) | instid1(VALU_DEP_2)
	v_add_f32_e32 v4, v6, v4
	v_dual_fmamk_f32 v8, v82, 0x3f65296c, v107 :: v_dual_add_f32 v7, v12, v7
	v_mul_f32_e32 v121, 0xbf4c4adb, v57
	v_mul_f32_e32 v131, 0x3ee437d1, v54
	s_delay_alu instid0(VALU_DEP_3) | instskip(NEXT) | instid1(VALU_DEP_3)
	v_add_f32_e32 v5, v8, v5
	v_fma_f32 v9, 0xbf1a4643, v63, -v121
	s_delay_alu instid0(VALU_DEP_3) | instskip(NEXT) | instid1(VALU_DEP_2)
	v_fmamk_f32 v10, v62, 0xbf65296c, v131
	v_dual_add_f32 v6, v9, v7 :: v_dual_fmamk_f32 v9, v88, 0x3eb8f4ab, v108
	s_delay_alu instid0(VALU_DEP_2) | instskip(SKIP_1) | instid1(VALU_DEP_2)
	v_dual_add_f32 v10, v13, v10 :: v_dual_mul_f32 v113, 0xbf7ee86f, v125
	v_mul_f32_e32 v112, 0xbeb8f4ab, v123
	v_fma_f32 v50, 0x3dbcf732, v81, -v113
	v_mul_f32_e32 v133, 0xbf1a4643, v110
	s_delay_alu instid0(VALU_DEP_1) | instskip(NEXT) | instid1(VALU_DEP_1)
	v_fmamk_f32 v11, v64, 0xbf4c4adb, v133
	v_dual_add_f32 v10, v11, v10 :: v_dual_fmamk_f32 v11, v66, 0x3e3c28d5, v132
	v_fma_f32 v7, 0xbf7ba420, v65, -v118
	s_delay_alu instid0(VALU_DEP_1) | instskip(SKIP_2) | instid1(VALU_DEP_3)
	v_dual_mul_f32 v99, 0x3eb8f4ab, v128 :: v_dual_add_f32 v6, v7, v6
	v_fma_f32 v7, 0xbe8c1d8e, v67, -v117
	v_mul_f32_e32 v111, 0x3f2c7751, v119
	v_fma_f32 v8, 0x3f6eb680, v86, -v99
	s_delay_alu instid0(VALU_DEP_3) | instskip(NEXT) | instid1(VALU_DEP_3)
	v_add_f32_e32 v6, v7, v6
	v_fma_f32 v7, 0x3f3d2fb0, v71, -v111
	s_delay_alu instid0(VALU_DEP_1) | instskip(SKIP_1) | instid1(VALU_DEP_1)
	v_add_f32_e32 v6, v7, v6
	v_fma_f32 v7, 0x3f6eb680, v75, -v112
	v_dual_add_f32 v7, v7, v6 :: v_dual_add_f32 v6, v8, v4
	s_delay_alu instid0(VALU_DEP_1) | instskip(SKIP_3) | instid1(VALU_DEP_2)
	v_add_f32_e32 v4, v50, v7
	v_fmamk_f32 v50, v76, 0xbeb8f4ab, v135
	v_mul_f32_e32 v146, 0x3dbcf732, v54
	v_dual_mul_f32 v142, 0xbf7ee86f, v56 :: v_dual_add_f32 v7, v9, v5
	v_fmamk_f32 v9, v62, 0xbf7ee86f, v146
	s_delay_alu instid0(VALU_DEP_1) | instskip(NEXT) | instid1(VALU_DEP_1)
	v_dual_mul_f32 v130, 0xbe8c1d8e, v122 :: v_dual_add_f32 v9, v13, v9
	v_dual_add_f32 v10, v11, v10 :: v_dual_fmamk_f32 v11, v68, 0x3f763a35, v130
	s_delay_alu instid0(VALU_DEP_1) | instskip(NEXT) | instid1(VALU_DEP_1)
	v_dual_mul_f32 v129, 0x3f3d2fb0, v124 :: v_dual_add_f32 v10, v11, v10
	v_fmamk_f32 v11, v72, 0x3f2c7751, v129
	s_delay_alu instid0(VALU_DEP_1) | instskip(SKIP_3) | instid1(VALU_DEP_3)
	v_add_f32_e32 v5, v11, v10
	v_fmamk_f32 v11, v64, 0xbe3c28d5, v147
	v_mul_f32_e32 v114, 0xbf06c442, v128
	v_fma_f32 v10, 0xbf7ba420, v63, -v144
	v_add_f32_e32 v9, v11, v9
	s_delay_alu instid0(VALU_DEP_3) | instskip(SKIP_1) | instid1(VALU_DEP_1)
	v_fma_f32 v8, 0xbf59a7d5, v86, -v114
	v_mul_f32_e32 v148, 0xbe8c1d8e, v116
	v_dual_add_f32 v4, v8, v4 :: v_dual_fmamk_f32 v11, v66, 0x3f763a35, v148
	v_fma_f32 v8, 0x3dbcf732, v61, -v142
	s_delay_alu instid0(VALU_DEP_1) | instskip(NEXT) | instid1(VALU_DEP_1)
	v_dual_add_f32 v9, v11, v9 :: v_dual_add_f32 v8, v12, v8
	v_add_f32_e32 v8, v10, v8
	v_fma_f32 v10, 0xbe8c1d8e, v65, -v138
	s_delay_alu instid0(VALU_DEP_1) | instskip(NEXT) | instid1(VALU_DEP_1)
	v_dual_add_f32 v8, v10, v8 :: v_dual_mul_f32 v139, 0x3eb8f4ab, v115
	v_fma_f32 v10, 0x3f6eb680, v67, -v139
	s_delay_alu instid0(VALU_DEP_1) | instskip(SKIP_1) | instid1(VALU_DEP_1)
	v_add_f32_e32 v8, v10, v8
	v_fma_f32 v10, 0x3ee437d1, v71, -v140
	v_dual_mul_f32 v149, 0x3f6eb680, v122 :: v_dual_add_f32 v8, v10, v8
	v_fma_f32 v10, 0xbf59a7d5, v75, -v141
	s_delay_alu instid0(VALU_DEP_1) | instskip(SKIP_1) | instid1(VALU_DEP_2)
	v_dual_fmamk_f32 v11, v68, 0x3eb8f4ab, v149 :: v_dual_add_f32 v8, v10, v8
	v_mul_f32_e32 v143, 0x3f4c4adb, v125
	v_add_f32_e32 v9, v11, v9
	v_dual_add_f32 v5, v50, v5 :: v_dual_mul_f32 v152, 0xbf59a7d5, v126
	s_delay_alu instid0(VALU_DEP_3) | instskip(NEXT) | instid1(VALU_DEP_1)
	v_fma_f32 v10, 0xbf1a4643, v81, -v143
	v_add_f32_e32 v8, v10, v8
	v_fma_f32 v10, 0xbe8c1d8e, v61, -v154
	s_delay_alu instid0(VALU_DEP_1) | instskip(SKIP_2) | instid1(VALU_DEP_3)
	v_dual_add_f32 v10, v12, v10 :: v_dual_mul_f32 v161, 0x3f06c442, v57
	v_fmamk_f32 v11, v72, 0xbf65296c, v151
	v_mul_f32_e32 v136, 0x3dbcf732, v127
	v_fma_f32 v52, 0xbf59a7d5, v63, -v161
	s_delay_alu instid0(VALU_DEP_1) | instskip(SKIP_1) | instid1(VALU_DEP_1)
	v_dual_add_f32 v9, v11, v9 :: v_dual_add_f32 v10, v52, v10
	v_fma_f32 v52, 0x3f3d2fb0, v65, -v160
	v_dual_mul_f32 v159, 0xbf65296c, v115 :: v_dual_add_f32 v10, v52, v10
	s_delay_alu instid0(VALU_DEP_1) | instskip(NEXT) | instid1(VALU_DEP_1)
	v_fma_f32 v52, 0x3ee437d1, v67, -v159
	v_dual_fmamk_f32 v53, v66, 0x3f2c7751, v166 :: v_dual_add_f32 v10, v52, v10
	s_delay_alu instid0(VALU_DEP_1) | instskip(SKIP_1) | instid1(VALU_DEP_1)
	v_add_f32_e32 v51, v53, v51
	v_fmamk_f32 v53, v68, 0xbf65296c, v167
	v_add_f32_e32 v51, v53, v51
	v_fmamk_f32 v53, v72, 0xbe3c28d5, v168
	v_fma_f32 v52, 0xbf7ba420, v71, -v158
	s_delay_alu instid0(VALU_DEP_1) | instskip(NEXT) | instid1(VALU_DEP_1)
	v_dual_mul_f32 v157, 0x3f7ee86f, v123 :: v_dual_add_f32 v10, v52, v10
	v_fma_f32 v52, 0x3dbcf732, v75, -v157
	s_delay_alu instid0(VALU_DEP_4) | instskip(SKIP_1) | instid1(VALU_DEP_3)
	v_add_f32_e32 v51, v53, v51
	v_fmamk_f32 v53, v76, 0x3f7ee86f, v164
	v_add_f32_e32 v10, v52, v10
	v_fma_f32 v52, 0x3f6eb680, v81, -v156
	v_mul_f32_e32 v163, 0x3f6eb680, v127
	s_delay_alu instid0(VALU_DEP_2) | instskip(SKIP_2) | instid1(VALU_DEP_4)
	v_dual_add_f32 v51, v53, v51 :: v_dual_add_f32 v52, v52, v10
	v_fmamk_f32 v11, v76, 0xbf06c442, v152
	v_fmamk_f32 v50, v82, 0xbf7ee86f, v136
	;; [unrolled: 1-line block ×3, first 2 shown]
	s_delay_alu instid0(VALU_DEP_3) | instskip(NEXT) | instid1(VALU_DEP_3)
	v_dual_add_f32 v9, v11, v9 :: v_dual_mul_f32 v150, 0xbf1a4643, v127
	v_add_f32_e32 v5, v50, v5
	s_delay_alu instid0(VALU_DEP_3) | instskip(SKIP_1) | instid1(VALU_DEP_4)
	v_add_f32_e32 v51, v53, v51
	v_fmamk_f32 v53, v88, 0xbf4c4adb, v162
	v_fmamk_f32 v11, v82, 0x3f4c4adb, v150
	s_delay_alu instid0(VALU_DEP_1) | instskip(SKIP_1) | instid1(VALU_DEP_1)
	v_add_f32_e32 v9, v11, v9
	v_fma_f32 v11, 0x3f3d2fb0, v86, -v145
	v_add_f32_e32 v10, v11, v8
	s_delay_alu instid0(VALU_DEP_3) | instskip(SKIP_1) | instid1(VALU_DEP_2)
	v_dual_fmamk_f32 v50, v88, 0xbf06c442, v137 :: v_dual_add_f32 v11, v55, v9
	v_dual_add_f32 v8, v170, v52 :: v_dual_add_f32 v9, v53, v51
	v_add_f32_e32 v5, v50, v5
	v_cmpx_gt_u32_e32 0x78, v46
	s_cbranch_execz .LBB0_15
; %bb.14:
	v_mul_f32_e32 v171, 0x3f65296c, v57
	v_dual_mul_f32 v172, 0xbf7ee86f, v66 :: v_dual_mul_f32 v173, 0xbf7ee86f, v109
	v_dual_mul_f32 v181, 0x3f2c7751, v82 :: v_dual_mul_f32 v182, 0x3f2c7751, v125
	s_delay_alu instid0(VALU_DEP_3) | instskip(SKIP_1) | instid1(VALU_DEP_4)
	v_fma_f32 v175, 0x3ee437d1, v63, -v171
	v_mul_f32_e32 v170, 0xbf06c442, v56
	v_fmamk_f32 v177, v116, 0x3dbcf732, v172
	v_mul_f32_e32 v176, 0x3f4c4adb, v115
	v_fma_f32 v183, 0x3f3d2fb0, v81, -v182
	v_mul_f32_e32 v184, 0xbe3c28d5, v62
	v_fma_f32 v51, 0xbf59a7d5, v61, -v170
	;; [unrolled: 2-line block ×3, first 2 shown]
	v_mul_f32_e32 v185, 0xbf763a35, v128
	s_delay_alu instid0(VALU_DEP_4) | instskip(SKIP_2) | instid1(VALU_DEP_4)
	v_dual_fmamk_f32 v186, v54, 0xbf7ba420, v184 :: v_dual_add_f32 v51, v12, v51
	v_mul_f32_e32 v187, 0x3eb8f4ab, v64
	v_mul_f32_e32 v180, 0xbe3c28d5, v123
	v_fma_f32 v188, 0xbe8c1d8e, v86, -v185
	v_mul_f32_e32 v191, 0x3f2c7751, v68
	v_dual_add_f32 v51, v175, v51 :: v_dual_fmamk_f32 v50, v54, 0xbf59a7d5, v52
	v_mul_f32_e32 v55, 0x3f65296c, v64
	v_fmamk_f32 v189, v110, 0x3f6eb680, v187
	v_mul_f32_e32 v194, 0xbf4c4adb, v72
	v_mul_f32_e32 v198, 0xbf763a35, v82
	s_delay_alu instid0(VALU_DEP_4)
	v_dual_add_f32 v50, v13, v50 :: v_dual_fmamk_f32 v53, v110, 0x3ee437d1, v55
	v_fma_f32 v55, 0x3ee437d1, v110, -v55
	v_fmac_f32_e32 v182, 0x3f3d2fb0, v81
	v_fma_f32 v172, 0x3dbcf732, v116, -v172
	v_add_f32_e32 v186, v13, v186
	v_add_f32_e32 v50, v53, v50
	v_fma_f32 v53, 0x3dbcf732, v65, -v173
	v_mul_f32_e32 v190, 0xbf06c442, v66
	v_mul_f32_e32 v200, 0xbf763a35, v125
	v_add_f32_e32 v186, v189, v186
	v_add_f32_e32 v50, v177, v50
	v_dual_add_f32 v51, v53, v51 :: v_dual_mul_f32 v174, 0x3f4c4adb, v68
	v_mul_f32_e32 v177, 0xbeb8f4ab, v72
	v_dual_fmac_f32 v170, 0xbf59a7d5, v61 :: v_dual_add_f32 v15, v13, v15
	s_delay_alu instid0(VALU_DEP_3) | instskip(NEXT) | instid1(VALU_DEP_3)
	v_dual_add_f32 v51, v178, v51 :: v_dual_mul_f32 v178, 0xbe3c28d5, v76
	v_fmamk_f32 v53, v124, 0x3f6eb680, v177
	s_delay_alu instid0(VALU_DEP_3) | instskip(NEXT) | instid1(VALU_DEP_4)
	v_dual_fmamk_f32 v175, v122, 0xbf1a4643, v174 :: v_dual_add_f32 v170, v12, v170
	v_dual_add_f32 v14, v12, v14 :: v_dual_add_f32 v15, v15, v41
	s_delay_alu instid0(VALU_DEP_2) | instskip(NEXT) | instid1(VALU_DEP_1)
	v_add_f32_e32 v50, v175, v50
	v_dual_add_f32 v15, v15, v43 :: v_dual_add_f32 v50, v53, v50
	v_fmamk_f32 v53, v126, 0xbf7ba420, v178
	s_delay_alu instid0(VALU_DEP_1) | instskip(SKIP_2) | instid1(VALU_DEP_2)
	v_dual_add_f32 v15, v15, v37 :: v_dual_add_f32 v50, v53, v50
	v_fmamk_f32 v53, v127, 0x3f3d2fb0, v181
	v_mul_f32_e32 v179, 0xbeb8f4ab, v119
	v_dual_add_f32 v15, v15, v39 :: v_dual_add_f32 v50, v53, v50
	s_delay_alu instid0(VALU_DEP_2) | instskip(SKIP_1) | instid1(VALU_DEP_3)
	v_fma_f32 v175, 0x3f6eb680, v71, -v179
	v_fmac_f32_e32 v179, 0x3f6eb680, v71
	v_add_f32_e32 v15, v15, v33
	s_delay_alu instid0(VALU_DEP_3) | instskip(SKIP_1) | instid1(VALU_DEP_3)
	v_add_f32_e32 v51, v175, v51
	v_fma_f32 v175, 0xbf7ba420, v75, -v180
	v_add_f32_e32 v15, v15, v35
	s_delay_alu instid0(VALU_DEP_2) | instskip(NEXT) | instid1(VALU_DEP_2)
	v_add_f32_e32 v51, v175, v51
	v_add_f32_e32 v29, v15, v29
	s_delay_alu instid0(VALU_DEP_2) | instskip(SKIP_1) | instid1(VALU_DEP_3)
	v_add_f32_e32 v183, v183, v51
	v_fma_f32 v184, 0xbf7ba420, v54, -v184
	v_add_f32_e32 v29, v29, v31
	s_delay_alu instid0(VALU_DEP_2) | instskip(SKIP_1) | instid1(VALU_DEP_3)
	v_dual_add_f32 v184, v13, v184 :: v_dual_fmamk_f32 v189, v116, 0xbf59a7d5, v190
	v_mul_f32_e32 v175, 0xbf763a35, v88
	v_add_f32_e32 v25, v29, v25
	s_delay_alu instid0(VALU_DEP_3) | instskip(NEXT) | instid1(VALU_DEP_2)
	v_dual_add_f32 v186, v189, v186 :: v_dual_fmamk_f32 v189, v122, 0x3f3d2fb0, v191
	v_add_f32_e32 v25, v25, v27
	s_delay_alu instid0(VALU_DEP_2) | instskip(SKIP_2) | instid1(VALU_DEP_4)
	v_dual_add_f32 v186, v189, v186 :: v_dual_fmamk_f32 v189, v124, 0xbf1a4643, v194
	v_fmamk_f32 v53, v134, 0xbe8c1d8e, v175
	v_fmac_f32_e32 v185, 0xbe8c1d8e, v86
	v_add_f32_e32 v21, v25, v21
	s_delay_alu instid0(VALU_DEP_4) | instskip(NEXT) | instid1(VALU_DEP_4)
	v_add_f32_e32 v186, v189, v186
	v_add_f32_e32 v51, v53, v50
	v_dual_mul_f32 v53, 0xbe3c28d5, v56 :: v_dual_add_f32 v50, v188, v183
	v_mul_f32_e32 v188, 0x3eb8f4ab, v57
	v_fmac_f32_e32 v180, 0xbf7ba420, v75
	v_fmac_f32_e32 v171, 0x3ee437d1, v63
	s_delay_alu instid0(VALU_DEP_4)
	v_fma_f32 v183, 0xbf7ba420, v61, -v53
	v_fmac_f32_e32 v53, 0xbf7ba420, v61
	v_fma_f32 v192, 0x3f6eb680, v63, -v188
	v_fmac_f32_e32 v188, 0x3f6eb680, v63
	v_fma_f32 v187, 0x3f6eb680, v110, -v187
	v_add_f32_e32 v183, v12, v183
	v_add_f32_e32 v53, v12, v53
	v_dual_mul_f32 v195, 0x3f2c7751, v115 :: v_dual_add_f32 v170, v171, v170
	s_delay_alu instid0(VALU_DEP_3) | instskip(NEXT) | instid1(VALU_DEP_3)
	v_dual_add_f32 v184, v187, v184 :: v_dual_add_f32 v183, v192, v183
	v_add_f32_e32 v188, v188, v53
	v_mul_f32_e32 v196, 0x3f65296c, v76
	v_fma_f32 v187, 0xbf59a7d5, v116, -v190
	v_mul_f32_e32 v190, 0x3f7ee86f, v88
	v_mul_f32_e32 v110, 0xbe8c1d8e, v110
	v_fmac_f32_e32 v176, 0xbf1a4643, v67
	s_delay_alu instid0(VALU_DEP_4) | instskip(SKIP_3) | instid1(VALU_DEP_4)
	v_dual_fmamk_f32 v189, v126, 0x3ee437d1, v196 :: v_dual_add_f32 v184, v187, v184
	v_mul_f32_e32 v116, 0x3f6eb680, v116
	v_mul_f32_e32 v115, 0xbf06c442, v115
	v_add_f32_e32 v21, v21, v23
	v_dual_add_f32 v186, v189, v186 :: v_dual_fmamk_f32 v189, v127, 0xbe8c1d8e, v198
	v_mul_f32_e32 v193, 0xbf06c442, v109
	v_fma_f32 v187, 0x3f3d2fb0, v122, -v191
	s_delay_alu instid0(VALU_DEP_4) | instskip(NEXT) | instid1(VALU_DEP_4)
	v_add_f32_e32 v17, v21, v17
	v_add_f32_e32 v186, v189, v186
	s_delay_alu instid0(VALU_DEP_4) | instskip(SKIP_3) | instid1(VALU_DEP_4)
	v_fma_f32 v192, 0xbf59a7d5, v65, -v193
	v_fmac_f32_e32 v193, 0xbf59a7d5, v65
	v_mul_f32_e32 v197, 0xbf4c4adb, v119
	v_fma_f32 v189, 0xbe8c1d8e, v81, -v200
	v_dual_add_f32 v184, v187, v184 :: v_dual_add_f32 v183, v192, v183
	v_fma_f32 v192, 0x3f3d2fb0, v67, -v195
	v_fmac_f32_e32 v195, 0x3f3d2fb0, v67
	v_mul_f32_e32 v199, 0x3f65296c, v123
	v_fma_f32 v187, 0xbf1a4643, v124, -v194
	s_delay_alu instid0(VALU_DEP_4) | instskip(SKIP_1) | instid1(VALU_DEP_3)
	v_dual_fmac_f32 v200, 0xbe8c1d8e, v81 :: v_dual_add_f32 v183, v192, v183
	v_fma_f32 v192, 0xbf1a4643, v71, -v197
	v_dual_mul_f32 v119, 0x3f7ee86f, v119 :: v_dual_add_f32 v184, v187, v184
	v_fma_f32 v187, 0x3ee437d1, v126, -v196
	v_add_f32_e32 v17, v17, v19
	s_delay_alu instid0(VALU_DEP_4) | instskip(SKIP_1) | instid1(VALU_DEP_3)
	v_add_f32_e32 v183, v192, v183
	v_fma_f32 v192, 0x3ee437d1, v75, -v199
	v_add_f32_e32 v3, v17, v3
	v_lshl_add_u32 v17, v46, 7, v58
	s_delay_alu instid0(VALU_DEP_3) | instskip(NEXT) | instid1(VALU_DEP_1)
	v_add_f32_e32 v183, v192, v183
	v_add_f32_e32 v183, v189, v183
	v_fmamk_f32 v189, v134, 0x3dbcf732, v190
	s_delay_alu instid0(VALU_DEP_1) | instskip(SKIP_4) | instid1(VALU_DEP_3)
	v_add_f32_e32 v53, v189, v186
	v_fma_f32 v189, 0xbf59a7d5, v54, -v52
	v_mul_f32_e32 v191, 0x3f7ee86f, v128
	v_dual_add_f32 v186, v193, v188 :: v_dual_fmac_f32 v197, 0xbf1a4643, v71
	v_mul_f32_e32 v128, 0x3f65296c, v128
	v_fma_f32 v188, 0x3dbcf732, v86, -v191
	s_delay_alu instid0(VALU_DEP_3) | instskip(NEXT) | instid1(VALU_DEP_2)
	v_add_f32_e32 v186, v195, v186
	v_dual_add_f32 v52, v188, v183 :: v_dual_add_f32 v183, v187, v184
	v_dual_add_f32 v184, v13, v189 :: v_dual_fmac_f32 v191, 0x3dbcf732, v86
	v_fmac_f32_e32 v173, 0x3dbcf732, v65
	v_fma_f32 v187, 0xbe8c1d8e, v127, -v198
	s_delay_alu instid0(VALU_DEP_2) | instskip(NEXT) | instid1(VALU_DEP_4)
	v_add_f32_e32 v173, v173, v170
	v_dual_mul_f32 v170, 0xbf1a4643, v54 :: v_dual_add_f32 v55, v55, v184
	s_delay_alu instid0(VALU_DEP_2) | instskip(SKIP_1) | instid1(VALU_DEP_3)
	v_dual_add_f32 v186, v197, v186 :: v_dual_add_f32 v173, v176, v173
	v_fma_f32 v176, 0x3f3d2fb0, v127, -v181
	v_add_f32_e32 v55, v172, v55
	v_fma_f32 v172, 0xbf1a4643, v122, -v174
	v_mul_f32_e32 v122, 0xbf59a7d5, v122
	v_mul_f32_e32 v127, 0xbf7ba420, v127
	s_delay_alu instid0(VALU_DEP_3) | instskip(SKIP_2) | instid1(VALU_DEP_2)
	v_add_f32_e32 v171, v172, v55
	v_fma_f32 v172, 0x3f6eb680, v124, -v177
	v_fma_f32 v55, 0x3dbcf732, v134, -v190
	v_add_f32_e32 v171, v172, v171
	v_fma_f32 v172, 0xbf7ba420, v126, -v178
	s_delay_alu instid0(VALU_DEP_1) | instskip(NEXT) | instid1(VALU_DEP_1)
	v_add_f32_e32 v171, v172, v171
	v_dual_add_f32 v171, v176, v171 :: v_dual_mul_f32 v176, 0xbf4c4adb, v56
	v_dual_fmac_f32 v199, 0x3ee437d1, v75 :: v_dual_add_f32 v172, v179, v173
	s_delay_alu instid0(VALU_DEP_1) | instskip(NEXT) | instid1(VALU_DEP_1)
	v_add_f32_e32 v184, v199, v186
	v_dual_add_f32 v174, v187, v183 :: v_dual_add_f32 v183, v200, v184
	s_delay_alu instid0(VALU_DEP_1) | instskip(NEXT) | instid1(VALU_DEP_1)
	v_dual_add_f32 v55, v55, v174 :: v_dual_fmamk_f32 v174, v62, 0x3f4c4adb, v170
	v_dual_add_f32 v173, v13, v174 :: v_dual_fmamk_f32 v174, v64, 0xbf763a35, v110
	s_delay_alu instid0(VALU_DEP_1) | instskip(SKIP_1) | instid1(VALU_DEP_2)
	v_dual_add_f32 v172, v180, v172 :: v_dual_add_f32 v173, v174, v173
	v_fmamk_f32 v174, v66, 0x3eb8f4ab, v116
	v_add_f32_e32 v172, v182, v172
	v_fmac_f32_e32 v116, 0xbeb8f4ab, v66
	v_add_f32_e32 v54, v191, v183
	s_delay_alu instid0(VALU_DEP_4) | instskip(SKIP_4) | instid1(VALU_DEP_4)
	v_add_f32_e32 v56, v174, v173
	v_mul_f32_e32 v174, 0x3dbcf732, v124
	v_mul_f32_e32 v177, 0x3f763a35, v57
	v_fma_f32 v124, 0xbe8c1d8e, v134, -v175
	v_mul_f32_e32 v134, 0x3ee437d1, v134
	v_fmamk_f32 v57, v72, 0xbf7ee86f, v174
	v_fmamk_f32 v173, v68, 0x3f06c442, v122
	v_fmac_f32_e32 v174, 0x3f7ee86f, v72
	v_fmac_f32_e32 v110, 0x3f763a35, v64
	s_delay_alu instid0(VALU_DEP_3) | instskip(NEXT) | instid1(VALU_DEP_1)
	v_dual_add_f32 v56, v173, v56 :: v_dual_mul_f32 v173, 0x3f3d2fb0, v126
	v_add_f32_e32 v178, v57, v56
	v_dual_add_f32 v56, v185, v172 :: v_dual_add_f32 v57, v124, v171
	v_fmamk_f32 v172, v67, 0xbf59a7d5, v115
	v_mul_f32_e32 v171, 0xbf763a35, v62
	s_delay_alu instid0(VALU_DEP_1) | instskip(SKIP_3) | instid1(VALU_DEP_2)
	v_sub_f32_e32 v165, v165, v171
	v_fmamk_f32 v171, v71, 0x3dbcf732, v119
	v_fmamk_f32 v179, v76, 0x3f2c7751, v173
	;; [unrolled: 1-line block ×3, first 2 shown]
	v_dual_fmac_f32 v173, 0xbf2c7751, v76 :: v_dual_add_f32 v124, v179, v178
	s_delay_alu instid0(VALU_DEP_2) | instskip(NEXT) | instid1(VALU_DEP_1)
	v_dual_add_f32 v126, v12, v175 :: v_dual_fmamk_f32 v175, v63, 0xbe8c1d8e, v177
	v_dual_add_f32 v126, v175, v126 :: v_dual_mul_f32 v109, 0xbeb8f4ab, v109
	s_delay_alu instid0(VALU_DEP_1) | instskip(NEXT) | instid1(VALU_DEP_1)
	v_fmamk_f32 v175, v65, 0x3f6eb680, v109
	v_dual_add_f32 v126, v175, v126 :: v_dual_mul_f32 v175, 0x3f06c442, v64
	s_delay_alu instid0(VALU_DEP_1) | instskip(SKIP_1) | instid1(VALU_DEP_3)
	v_add_f32_e32 v126, v172, v126
	v_mul_f32_e32 v172, 0xbf2c7751, v123
	v_sub_f32_e32 v123, v169, v175
	v_mul_f32_e32 v169, 0x3f2c7751, v66
	s_delay_alu instid0(VALU_DEP_4) | instskip(NEXT) | instid1(VALU_DEP_2)
	v_dual_mul_f32 v175, 0xbe3c28d5, v125 :: v_dual_add_f32 v126, v171, v126
	v_sub_f32_e32 v125, v166, v169
	v_dual_fmamk_f32 v166, v82, 0x3e3c28d5, v127 :: v_dual_add_f32 v165, v13, v165
	v_fmamk_f32 v171, v75, 0x3f3d2fb0, v172
	s_delay_alu instid0(VALU_DEP_2) | instskip(NEXT) | instid1(VALU_DEP_3)
	v_dual_fmamk_f32 v169, v81, 0xbf7ba420, v175 :: v_dual_add_f32 v124, v166, v124
	v_add_f32_e32 v123, v123, v165
	v_mul_f32_e32 v165, 0xbf65296c, v68
	s_delay_alu instid0(VALU_DEP_2) | instskip(NEXT) | instid1(VALU_DEP_2)
	v_dual_mul_f32 v166, 0xbe8c1d8e, v61 :: v_dual_add_f32 v123, v125, v123
	v_sub_f32_e32 v125, v167, v165
	s_delay_alu instid0(VALU_DEP_2) | instskip(NEXT) | instid1(VALU_DEP_2)
	v_dual_mul_f32 v165, 0xbe3c28d5, v72 :: v_dual_add_f32 v154, v166, v154
	v_dual_mul_f32 v166, 0xbeb8f4ab, v82 :: v_dual_add_f32 v123, v125, v123
	s_delay_alu instid0(VALU_DEP_2) | instskip(NEXT) | instid1(VALU_DEP_3)
	v_sub_f32_e32 v125, v168, v165
	v_dual_mul_f32 v165, 0x3f7ee86f, v76 :: v_dual_add_f32 v154, v12, v154
	s_delay_alu instid0(VALU_DEP_3) | instskip(SKIP_1) | instid1(VALU_DEP_4)
	v_sub_f32_e32 v163, v163, v166
	v_fmac_f32_e32 v127, 0xbe3c28d5, v82
	v_add_f32_e32 v123, v125, v123
	s_delay_alu instid0(VALU_DEP_4) | instskip(SKIP_1) | instid1(VALU_DEP_2)
	v_dual_sub_f32 v125, v164, v165 :: v_dual_mul_f32 v164, 0xbf59a7d5, v63
	v_fmamk_f32 v165, v86, 0x3ee437d1, v128
	v_add_f32_e32 v125, v125, v123
	s_delay_alu instid0(VALU_DEP_3) | instskip(SKIP_2) | instid1(VALU_DEP_1)
	v_add_f32_e32 v161, v164, v161
	v_mul_f32_e32 v164, 0x3f3d2fb0, v65
	v_add_f32_e32 v126, v171, v126
	v_add_f32_e32 v126, v169, v126
	s_delay_alu instid0(VALU_DEP_1) | instskip(SKIP_3) | instid1(VALU_DEP_2)
	v_add_f32_e32 v123, v165, v126
	v_add_f32_e32 v126, v161, v154
	;; [unrolled: 1-line block ×3, first 2 shown]
	v_mul_f32_e32 v160, 0xbf7ee86f, v62
	v_add_f32_e32 v126, v154, v126
	v_mul_f32_e32 v154, 0xbe3c28d5, v64
	s_delay_alu instid0(VALU_DEP_1) | instskip(NEXT) | instid1(VALU_DEP_1)
	v_dual_sub_f32 v146, v146, v160 :: v_dual_sub_f32 v147, v147, v154
	v_add_f32_e32 v146, v13, v146
	v_mul_f32_e32 v154, 0x3f763a35, v66
	v_fmamk_f32 v167, v88, 0xbf65296c, v134
	v_fmac_f32_e32 v134, 0x3f65296c, v88
	s_delay_alu instid0(VALU_DEP_4) | instskip(NEXT) | instid1(VALU_DEP_4)
	v_add_f32_e32 v146, v147, v146
	v_dual_sub_f32 v148, v148, v154 :: v_dual_mul_f32 v161, 0x3ee437d1, v67
	v_mul_f32_e32 v147, 0x3dbcf732, v75
	v_mul_f32_e32 v154, 0xbeb8f4ab, v62
	v_add_f32_e32 v124, v167, v124
	s_delay_alu instid0(VALU_DEP_4) | instskip(SKIP_2) | instid1(VALU_DEP_2)
	v_dual_add_f32 v146, v148, v146 :: v_dual_add_f32 v159, v161, v159
	v_mul_f32_e32 v161, 0xbf7ba420, v71
	v_mul_f32_e32 v148, 0x3f6eb680, v81
	v_dual_add_f32 v147, v147, v157 :: v_dual_add_f32 v158, v161, v158
	s_delay_alu instid0(VALU_DEP_2) | instskip(SKIP_2) | instid1(VALU_DEP_2)
	v_add_f32_e32 v148, v148, v156
	v_mul_f32_e32 v156, 0x3ee437d1, v61
	v_add_f32_e32 v126, v159, v126
	v_add_f32_e32 v120, v156, v120
	s_delay_alu instid0(VALU_DEP_2) | instskip(SKIP_2) | instid1(VALU_DEP_4)
	v_dual_add_f32 v126, v158, v126 :: v_dual_add_f32 v125, v163, v125
	v_mul_f32_e32 v163, 0xbf4c4adb, v88
	v_mul_f32_e32 v158, 0x3eb8f4ab, v68
	v_add_f32_e32 v120, v12, v120
	s_delay_alu instid0(VALU_DEP_4) | instskip(NEXT) | instid1(VALU_DEP_3)
	v_dual_add_f32 v126, v147, v126 :: v_dual_mul_f32 v159, 0x3f6eb680, v61
	v_dual_sub_f32 v160, v162, v163 :: v_dual_sub_f32 v149, v149, v158
	v_mul_f32_e32 v158, 0xbf2c7751, v62
	s_delay_alu instid0(VALU_DEP_3) | instskip(SKIP_2) | instid1(VALU_DEP_4)
	v_add_f32_e32 v148, v148, v126
	v_mul_f32_e32 v126, 0xbf06c442, v76
	v_dual_mul_f32 v156, 0x3f06c442, v72 :: v_dual_add_f32 v69, v159, v69
	v_sub_f32_e32 v104, v104, v158
	v_mul_f32_e32 v158, 0x3f763a35, v76
	s_delay_alu instid0(VALU_DEP_4) | instskip(SKIP_4) | instid1(VALU_DEP_4)
	v_sub_f32_e32 v152, v152, v126
	v_dual_add_f32 v126, v160, v125 :: v_dual_mul_f32 v147, 0xbf65296c, v72
	v_add_f32_e32 v146, v149, v146
	v_add_f32_e32 v104, v13, v104
	v_mul_f32_e32 v160, 0x3eb8f4ab, v88
	v_dual_sub_f32 v100, v100, v156 :: v_dual_sub_f32 v147, v151, v147
	v_mul_f32_e32 v157, 0x3f3d2fb0, v61
	s_delay_alu instid0(VALU_DEP_2) | instskip(NEXT) | instid1(VALU_DEP_1)
	v_dual_add_f32 v69, v12, v69 :: v_dual_add_f32 v146, v147, v146
	v_dual_add_f32 v93, v157, v93 :: v_dual_add_f32 v146, v152, v146
	v_mul_f32_e32 v152, 0xbf7ba420, v63
	s_delay_alu instid0(VALU_DEP_1) | instskip(NEXT) | instid1(VALU_DEP_1)
	v_dual_mul_f32 v149, 0xbf1a4643, v86 :: v_dual_add_f32 v144, v152, v144
	v_add_f32_e32 v149, v149, v155
	v_mul_f32_e32 v155, 0x3dbcf732, v61
	v_mul_f32_e32 v152, 0xbf1a4643, v63
	s_delay_alu instid0(VALU_DEP_2) | instskip(SKIP_1) | instid1(VALU_DEP_3)
	v_dual_add_f32 v142, v155, v142 :: v_dual_add_f32 v125, v149, v148
	v_mul_f32_e32 v149, 0x3f4c4adb, v82
	v_dual_add_f32 v121, v152, v121 :: v_dual_mul_f32 v148, 0x3dbcf732, v63
	s_delay_alu instid0(VALU_DEP_3) | instskip(NEXT) | instid1(VALU_DEP_3)
	v_dual_add_f32 v142, v12, v142 :: v_dual_mul_f32 v155, 0xbf7ee86f, v64
	v_dual_sub_f32 v149, v150, v149 :: v_dual_mul_f32 v150, 0x3f2c7751, v88
	s_delay_alu instid0(VALU_DEP_2) | instskip(NEXT) | instid1(VALU_DEP_2)
	v_dual_mul_f32 v161, 0xbf2c7751, v64 :: v_dual_add_f32 v142, v144, v142
	v_dual_mul_f32 v147, 0x3f3d2fb0, v63 :: v_dual_add_f32 v146, v149, v146
	s_delay_alu instid0(VALU_DEP_3)
	v_dual_sub_f32 v150, v153, v150 :: v_dual_mul_f32 v153, 0xbe8c1d8e, v65
	v_mul_f32_e32 v149, 0xbf4c4adb, v64
	v_sub_f32_e32 v105, v105, v155
	v_mul_f32_e32 v152, 0x3f3d2fb0, v71
	v_dual_mul_f32 v155, 0xbf59a7d5, v81 :: v_dual_add_f32 v94, v148, v94
	v_add_f32_e32 v138, v153, v138
	v_sub_f32_e32 v133, v133, v149
	v_add_f32_e32 v104, v105, v104
	v_mul_f32_e32 v148, 0xbf59a7d5, v86
	v_add_f32_e32 v162, v12, v93
	v_add_f32_e32 v138, v138, v142
	v_mul_f32_e32 v142, 0x3e3c28d5, v66
	v_dual_mul_f32 v153, 0x3f6eb680, v67 :: v_dual_sub_f32 v78, v78, v161
	s_delay_alu instid0(VALU_DEP_4) | instskip(NEXT) | instid1(VALU_DEP_2)
	v_dual_add_f32 v94, v94, v162 :: v_dual_add_f32 v77, v147, v77
	v_dual_sub_f32 v132, v132, v142 :: v_dual_add_f32 v139, v153, v139
	v_mul_f32_e32 v149, 0xbf1a4643, v65
	v_mul_f32_e32 v142, 0xbf7ba420, v65
	s_delay_alu instid0(VALU_DEP_3) | instskip(SKIP_2) | instid1(VALU_DEP_4)
	v_dual_add_f32 v69, v77, v69 :: v_dual_add_f32 v138, v139, v138
	v_mul_f32_e32 v139, 0x3f763a35, v68
	v_mul_f32_e32 v151, 0xbf65296c, v62
	v_add_f32_e32 v118, v142, v118
	v_mul_f32_e32 v142, 0x3f6eb680, v75
	v_add_f32_e32 v120, v121, v120
	v_sub_f32_e32 v130, v130, v139
	v_dual_mul_f32 v144, 0x3ee437d1, v65 :: v_dual_sub_f32 v131, v131, v151
	v_mul_f32_e32 v139, 0xbf7ee86f, v68
	s_delay_alu instid0(VALU_DEP_4) | instskip(NEXT) | instid1(VALU_DEP_3)
	v_dual_mul_f32 v121, 0xbe8c1d8e, v75 :: v_dual_add_f32 v118, v118, v120
	v_dual_mul_f32 v120, 0xbf06c442, v82 :: v_dual_add_f32 v131, v13, v131
	v_add_f32_e32 v95, v149, v95
	v_mul_f32_e32 v157, 0xbe3c28d5, v88
	v_dual_add_f32 v112, v142, v112 :: v_dual_add_f32 v73, v144, v73
	s_delay_alu instid0(VALU_DEP_4) | instskip(NEXT) | instid1(VALU_DEP_4)
	v_add_f32_e32 v131, v133, v131
	v_dual_mul_f32 v133, 0x3ee437d1, v71 :: v_dual_add_f32 v94, v95, v94
	v_dual_add_f32 v14, v14, v40 :: v_dual_sub_f32 v41, v80, v139
	s_delay_alu instid0(VALU_DEP_4) | instskip(NEXT) | instid1(VALU_DEP_3)
	v_add_f32_e32 v69, v73, v69
	v_dual_add_f32 v133, v133, v140 :: v_dual_mul_f32 v140, 0x3dbcf732, v67
	v_sub_f32_e32 v33, v90, v120
	s_delay_alu instid0(VALU_DEP_2) | instskip(NEXT) | instid1(VALU_DEP_1)
	v_dual_add_f32 v133, v133, v138 :: v_dual_mul_f32 v138, 0x3f2c7751, v72
	v_dual_sub_f32 v129, v129, v138 :: v_dual_mul_f32 v138, 0xbe3c28d5, v68
	v_add_f32_e32 v131, v132, v131
	v_mul_f32_e32 v151, 0xbf65296c, v66
	s_delay_alu instid0(VALU_DEP_3) | instskip(NEXT) | instid1(VALU_DEP_3)
	v_sub_f32_e32 v138, v101, v138
	v_add_f32_e32 v130, v130, v131
	v_mul_f32_e32 v132, 0xbf59a7d5, v75
	s_delay_alu instid0(VALU_DEP_4) | instskip(NEXT) | instid1(VALU_DEP_2)
	v_dual_mul_f32 v131, 0xbf1a4643, v81 :: v_dual_sub_f32 v74, v74, v151
	v_dual_add_f32 v129, v129, v130 :: v_dual_add_f32 v132, v132, v141
	v_mul_f32_e32 v153, 0xbf4c4adb, v66
	v_mul_f32_e32 v141, 0xbf7ba420, v67
	s_delay_alu instid0(VALU_DEP_4) | instskip(NEXT) | instid1(VALU_DEP_4)
	v_dual_mul_f32 v130, 0x3f3d2fb0, v86 :: v_dual_add_f32 v131, v131, v143
	v_dual_add_f32 v132, v132, v133 :: v_dual_mul_f32 v133, 0xbeb8f4ab, v76
	s_delay_alu instid0(VALU_DEP_2) | instskip(SKIP_1) | instid1(VALU_DEP_3)
	v_dual_mul_f32 v143, 0xbe8c1d8e, v67 :: v_dual_add_f32 v130, v130, v145
	v_dual_mul_f32 v145, 0xbf7ee86f, v82 :: v_dual_sub_f32 v106, v106, v153
	v_sub_f32_e32 v133, v135, v133
	v_mul_f32_e32 v135, 0xbe8c1d8e, v71
	s_delay_alu instid0(VALU_DEP_4) | instskip(NEXT) | instid1(VALU_DEP_4)
	v_add_f32_e32 v117, v143, v117
	v_dual_sub_f32 v136, v136, v145 :: v_dual_mul_f32 v145, 0xbf06c442, v88
	s_delay_alu instid0(VALU_DEP_4) | instskip(SKIP_2) | instid1(VALU_DEP_4)
	v_add_f32_e32 v129, v133, v129
	v_dual_mul_f32 v133, 0xbf59a7d5, v71 :: v_dual_add_f32 v104, v106, v104
	v_mul_f32_e32 v143, 0x3ee437d1, v81
	v_sub_f32_e32 v137, v137, v145
	v_mul_f32_e32 v145, 0xbf4c4adb, v76
	v_add_f32_e32 v129, v136, v129
	v_dual_mul_f32 v105, 0x3f65296c, v82 :: v_dual_add_f32 v104, v138, v104
	v_mul_f32_e32 v153, 0x3dbcf732, v81
	v_add_f32_e32 v117, v117, v118
	v_dual_add_f32 v111, v152, v111 :: v_dual_mul_f32 v118, 0xbf7ba420, v86
	v_add_f32_e32 v93, v150, v146
	v_add_f32_e32 v101, v137, v129
	v_add_f32_e32 v95, v141, v96
	v_add_f32_e32 v96, v100, v104
	v_sub_f32_e32 v100, v102, v158
	v_add_f32_e32 v104, v153, v113
	v_dual_add_f32 v111, v111, v117 :: v_dual_mul_f32 v106, 0x3f6eb680, v86
	v_dual_add_f32 v131, v131, v132 :: v_dual_mul_f32 v136, 0xbf1a4643, v75
	s_delay_alu instid0(VALU_DEP_4) | instskip(NEXT) | instid1(VALU_DEP_3)
	v_add_f32_e32 v96, v100, v96
	v_add_f32_e32 v102, v112, v111
	v_dual_add_f32 v94, v95, v94 :: v_dual_add_f32 v95, v133, v97
	v_dual_sub_f32 v97, v107, v105 :: v_dual_mul_f32 v132, 0xbf763a35, v72
	s_delay_alu instid0(VALU_DEP_3) | instskip(SKIP_1) | instid1(VALU_DEP_4)
	v_add_f32_e32 v100, v104, v102
	v_add_f32_e32 v102, v148, v114
	;; [unrolled: 1-line block ×5, first 2 shown]
	v_dual_sub_f32 v97, v108, v160 :: v_dual_sub_f32 v98, v70, v154
	v_add_f32_e32 v100, v102, v100
	s_delay_alu instid0(VALU_DEP_4) | instskip(NEXT) | instid1(VALU_DEP_3)
	v_add_f32_e32 v94, v95, v94
	v_dual_add_f32 v95, v143, v103 :: v_dual_add_f32 v70, v97, v96
	s_delay_alu instid0(VALU_DEP_4) | instskip(SKIP_2) | instid1(VALU_DEP_4)
	v_add_f32_e32 v96, v13, v98
	v_add_f32_e32 v14, v14, v42
	;; [unrolled: 1-line block ×3, first 2 shown]
	v_dual_add_f32 v94, v95, v94 :: v_dual_add_f32 v95, v106, v99
	s_delay_alu instid0(VALU_DEP_4) | instskip(SKIP_1) | instid1(VALU_DEP_2)
	v_dual_add_f32 v78, v78, v96 :: v_dual_add_f32 v37, v135, v83
	v_fmac_f32_e32 v122, 0xbf06c442, v68
	v_add_f32_e32 v40, v74, v78
	s_delay_alu instid0(VALU_DEP_1) | instskip(SKIP_4) | instid1(VALU_DEP_4)
	v_add_f32_e32 v40, v41, v40
	v_sub_f32_e32 v41, v84, v132
	v_add_f32_e32 v14, v14, v36
	v_dual_add_f32 v36, v42, v69 :: v_dual_add_f32 v69, v95, v94
	v_fmac_f32_e32 v170, 0xbf4c4adb, v62
	v_add_f32_e32 v40, v41, v40
	s_delay_alu instid0(VALU_DEP_4) | instskip(SKIP_2) | instid1(VALU_DEP_3)
	v_add_f32_e32 v14, v14, v38
	v_sub_f32_e32 v38, v87, v145
	v_dual_add_f32 v36, v37, v36 :: v_dual_add_f32 v37, v136, v85
	v_dual_add_f32 v13, v13, v170 :: v_dual_add_f32 v14, v14, v32
	s_delay_alu instid0(VALU_DEP_3) | instskip(NEXT) | instid1(VALU_DEP_1)
	v_add_f32_e32 v32, v38, v40
	v_dual_add_f32 v13, v110, v13 :: v_dual_add_f32 v32, v33, v32
	s_delay_alu instid0(VALU_DEP_3) | instskip(SKIP_1) | instid1(VALU_DEP_3)
	v_dual_sub_f32 v33, v92, v157 :: v_dual_add_f32 v14, v14, v34
	v_add_f32_e32 v34, v155, v89
	v_dual_add_f32 v36, v37, v36 :: v_dual_add_f32 v13, v116, v13
	s_delay_alu instid0(VALU_DEP_3) | instskip(NEXT) | instid1(VALU_DEP_4)
	v_add_f32_e32 v15, v33, v32
	v_add_f32_e32 v14, v14, v28
	;; [unrolled: 1-line block ×3, first 2 shown]
	s_delay_alu instid0(VALU_DEP_4) | instskip(SKIP_3) | instid1(VALU_DEP_3)
	v_add_f32_e32 v28, v34, v36
	v_add_f32_e32 v34, v118, v91
	;; [unrolled: 1-line block ×5, first 2 shown]
	v_fma_f32 v28, 0xbf1a4643, v61, -v176
	s_delay_alu instid0(VALU_DEP_3) | instskip(NEXT) | instid1(VALU_DEP_2)
	v_add_f32_e32 v24, v30, v24
	v_dual_add_f32 v13, v174, v13 :: v_dual_add_f32 v12, v12, v28
	v_fma_f32 v28, 0xbe8c1d8e, v63, -v177
	s_delay_alu instid0(VALU_DEP_2) | instskip(SKIP_1) | instid1(VALU_DEP_2)
	v_dual_add_f32 v13, v173, v13 :: v_dual_add_f32 v24, v24, v26
	v_fma_f32 v26, 0x3f6eb680, v65, -v109
	v_dual_add_f32 v12, v28, v12 :: v_dual_add_f32 v13, v127, v13
	s_delay_alu instid0(VALU_DEP_3) | instskip(SKIP_1) | instid1(VALU_DEP_3)
	v_add_f32_e32 v20, v24, v20
	v_fma_f32 v24, 0xbf59a7d5, v67, -v115
	v_add_f32_e32 v12, v26, v12
	s_delay_alu instid0(VALU_DEP_3) | instskip(SKIP_1) | instid1(VALU_DEP_3)
	v_dual_add_f32 v13, v134, v13 :: v_dual_add_f32 v20, v20, v22
	v_fma_f32 v22, 0x3dbcf732, v71, -v119
	v_add_f32_e32 v12, v24, v12
	s_delay_alu instid0(VALU_DEP_3) | instskip(SKIP_1) | instid1(VALU_DEP_3)
	v_add_f32_e32 v16, v20, v16
	v_fma_f32 v20, 0x3f3d2fb0, v75, -v172
	v_add_f32_e32 v12, v22, v12
	s_delay_alu instid0(VALU_DEP_3) | instskip(SKIP_1) | instid1(VALU_DEP_3)
	v_add_f32_e32 v16, v16, v18
	;; [unrolled: 4-line block ×3, first 2 shown]
	v_fma_f32 v16, 0x3ee437d1, v86, -v128
	v_add_f32_e32 v12, v18, v12
	s_delay_alu instid0(VALU_DEP_1)
	v_add_f32_e32 v12, v16, v12
	ds_store_2addr_b64 v17, v[2:3], v[14:15] offset1:1
	ds_store_2addr_b64 v17, v[69:70], v[100:101] offset0:2 offset1:3
	ds_store_2addr_b64 v17, v[92:93], v[125:126] offset0:4 offset1:5
	ds_store_2addr_b64 v17, v[123:124], v[56:57] offset0:6 offset1:7
	ds_store_2addr_b64 v17, v[54:55], v[52:53] offset0:8 offset1:9
	ds_store_2addr_b64 v17, v[50:51], v[12:13] offset0:10 offset1:11
	ds_store_2addr_b64 v17, v[8:9], v[10:11] offset0:12 offset1:13
	ds_store_2addr_b64 v17, v[4:5], v[6:7] offset0:14 offset1:15
	ds_store_b64 v17, v[0:1] offset:128
.LBB0_15:
	s_wait_alu 0xfffe
	s_or_b32 exec_lo, exec_lo, s1
	v_and_b32_e32 v3, 0xff, v46
	v_add_nc_u32_e32 v40, 0xaa, v46
	v_add_nc_u32_e32 v65, 0x154, v46
	s_load_b64 s[2:3], s[2:3], 0x0
	global_wb scope:SCOPE_SE
	s_wait_dscnt 0x0
	v_mul_lo_u16 v2, 0xf1, v3
	s_wait_kmcnt 0x0
	s_barrier_signal -1
	s_barrier_wait -1
	global_inv scope:SCOPE_SE
	v_cmp_gt_u32_e64 s0, 34, v46
	v_lshrrev_b16 v43, 12, v2
	v_and_b32_e32 v2, 0xffff, v40
	s_delay_alu instid0(VALU_DEP_2) | instskip(NEXT) | instid1(VALU_DEP_2)
	v_mul_lo_u16 v12, v43, 17
	v_mul_u32_u24_e32 v66, 0xf0f1, v2
	v_and_b32_e32 v2, 0xffff, v65
	s_delay_alu instid0(VALU_DEP_3) | instskip(NEXT) | instid1(VALU_DEP_3)
	v_sub_nc_u16 v12, v46, v12
	v_lshrrev_b32_e32 v67, 20, v66
	s_delay_alu instid0(VALU_DEP_3) | instskip(SKIP_1) | instid1(VALU_DEP_4)
	v_mul_u32_u24_e32 v68, 0xf0f1, v2
	v_lshrrev_b32_e32 v66, 22, v66
	v_and_b32_e32 v69, 0xff, v12
	s_delay_alu instid0(VALU_DEP_4) | instskip(NEXT) | instid1(VALU_DEP_4)
	v_mul_lo_u16 v2, v67, 17
	v_lshrrev_b32_e32 v70, 20, v68
	v_lshrrev_b32_e32 v68, 22, v68
	v_mul_u32_u24_e32 v67, 0x220, v67
	v_mul_u32_u24_e32 v12, 3, v69
	v_sub_nc_u16 v2, v40, v2
	v_mul_lo_u16 v13, v70, 17
	v_mul_u32_u24_e32 v70, 0x220, v70
	v_mul_lo_u16 v78, 0x44, v66
	v_lshlrev_b32_e32 v16, 3, v12
	v_and_b32_e32 v71, 0xffff, v2
	v_sub_nc_u16 v2, v65, v13
	v_mul_lo_u16 v79, 0x44, v68
	s_clause 0x1
	global_load_b128 v[12:15], v16, s[8:9]
	global_load_b64 v[41:42], v16, s[8:9] offset:16
	v_mul_u32_u24_e32 v17, 3, v71
	v_and_b32_e32 v72, 0xffff, v2
	s_delay_alu instid0(VALU_DEP_2) | instskip(NEXT) | instid1(VALU_DEP_2)
	v_lshlrev_b32_e32 v2, 3, v17
	v_mul_u32_u24_e32 v20, 3, v72
	global_load_b128 v[16:19], v2, s[8:9]
	v_lshlrev_b32_e32 v24, 3, v20
	s_clause 0x2
	global_load_b64 v[61:62], v2, s[8:9] offset:16
	global_load_b128 v[20:23], v24, s[8:9]
	global_load_b64 v[63:64], v24, s[8:9] offset:16
	ds_load_2addr_b64 v[24:27], v58 offset1:170
	v_add_nc_u32_e32 v2, 0x1e00, v58
	ds_load_2addr_b64 v[28:31], v60 offset0:40 offset1:210
	ds_load_2addr_b64 v[32:35], v59 offset0:36 offset1:206
	v_add_nc_u32_e32 v74, 0x800, v58
	v_add_nc_u32_e32 v75, 0x2800, v58
	v_lshlrev_b32_e32 v72, 3, v72
	v_and_b32_e32 v43, 0xffff, v43
	ds_load_2addr_b64 v[36:39], v74 offset0:84 offset1:254
	ds_load_2addr_b64 v[50:53], v2 offset0:60 offset1:230
	;; [unrolled: 1-line block ×3, first 2 shown]
	v_add_nc_u32_e32 v73, 0x1fe, v46
	v_add3_u32 v70, 0, v70, v72
	global_wb scope:SCOPE_SE
	s_wait_loadcnt_dscnt 0x0
	s_barrier_signal -1
	s_barrier_wait -1
	v_and_b32_e32 v76, 0xffff, v73
	global_inv scope:SCOPE_SE
	v_mul_u32_u24_e32 v76, 0xf0f1, v76
	s_delay_alu instid0(VALU_DEP_1) | instskip(NEXT) | instid1(VALU_DEP_1)
	v_lshrrev_b32_e32 v76, 22, v76
	v_mul_lo_u16 v80, 0x44, v76
	s_delay_alu instid0(VALU_DEP_1)
	v_sub_nc_u16 v73, v73, v80
	v_mul_f32_e32 v72, v15, v51
	v_mul_lo_u16 v3, 0x79, v3
	v_mul_f32_e32 v80, v42, v57
	v_dual_mul_f32 v42, v42, v56 :: v_dual_lshlrev_b32 v71, 3, v71
	v_mul_f32_e32 v15, v15, v50
	s_delay_alu instid0(VALU_DEP_4)
	v_lshrrev_b16 v3, 13, v3
	v_sub_nc_u16 v65, v65, v79
	v_fmac_f32_e32 v72, v14, v50
	v_add3_u32 v67, 0, v67, v71
	v_mul_f32_e32 v71, v13, v39
	v_mul_lo_u16 v77, 0x44, v3
	v_mul_f32_e32 v13, v13, v38
	v_sub_nc_u16 v78, v40, v78
	s_delay_alu instid0(VALU_DEP_4) | instskip(NEXT) | instid1(VALU_DEP_4)
	v_dual_fmac_f32 v80, v41, v56 :: v_dual_fmac_f32 v71, v12, v38
	v_sub_nc_u16 v77, v46, v77
	s_delay_alu instid0(VALU_DEP_4)
	v_fma_f32 v12, v12, v39, -v13
	v_fma_f32 v13, v14, v51, -v15
	;; [unrolled: 1-line block ×3, first 2 shown]
	v_mul_f32_e32 v38, v17, v29
	v_dual_mul_f32 v50, v55, v23 :: v_dual_and_b32 v77, 0xff, v77
	v_mul_f32_e32 v15, v17, v28
	v_mul_f32_e32 v17, v19, v53
	;; [unrolled: 1-line block ×5, first 2 shown]
	v_dual_mul_f32 v56, v34, v64 :: v_dual_lshlrev_b32 v69, 3, v69
	v_dual_fmac_f32 v38, v16, v28 :: v_dual_lshlrev_b32 v79, 4, v77
	v_dual_mul_f32 v51, v35, v64 :: v_dual_and_b32 v78, 0xffff, v78
	v_dual_fmac_f32 v50, v54, v22 :: v_dual_and_b32 v65, 0xffff, v65
	v_mul_f32_e32 v42, v31, v21
	v_mul_u32_u24_e32 v43, 0x220, v43
	v_mul_f32_e32 v21, v30, v21
	v_mul_f32_e32 v23, v54, v23
	v_fma_f32 v28, v16, v29, -v15
	v_dual_fmac_f32 v17, v18, v52 :: v_dual_sub_f32 v14, v12, v14
	v_fma_f32 v15, v18, v53, -v19
	v_fma_f32 v16, v33, v61, -v41
	v_sub_f32_e32 v19, v24, v72
	v_fmac_f32_e32 v39, v32, v61
	v_add3_u32 v43, 0, v43, v69
	v_dual_fmac_f32 v42, v30, v20 :: v_dual_lshlrev_b32 v69, 4, v78
	v_sub_f32_e32 v30, v26, v17
	v_fma_f32 v20, v31, v20, -v21
	v_fma_f32 v18, v55, v22, -v23
	v_dual_fmac_f32 v51, v34, v63 :: v_dual_sub_f32 v34, v36, v50
	v_fma_f32 v22, v35, v63, -v56
	v_sub_f32_e32 v21, v25, v13
	v_fma_f32 v29, v12, 2.0, -v14
	v_add_f32_e32 v12, v19, v14
	v_sub_f32_e32 v32, v38, v39
	v_sub_f32_e32 v22, v20, v22
	v_fma_f32 v23, v24, 2.0, -v19
	v_sub_f32_e32 v33, v28, v16
	v_sub_f32_e32 v13, v71, v80
	v_fma_f32 v24, v25, 2.0, -v21
	v_fma_f32 v36, v36, 2.0, -v34
	s_delay_alu instid0(VALU_DEP_4) | instskip(NEXT) | instid1(VALU_DEP_4)
	v_dual_sub_f32 v35, v37, v18 :: v_dual_add_f32 v18, v30, v33
	v_fma_f32 v25, v71, 2.0, -v13
	v_sub_f32_e32 v39, v42, v51
	v_fma_f32 v41, v26, 2.0, -v30
	v_sub_f32_e32 v13, v21, v13
	v_fma_f32 v16, v19, 2.0, -v12
	v_sub_f32_e32 v14, v23, v25
	v_fma_f32 v25, v38, 2.0, -v32
	v_sub_f32_e32 v31, v27, v15
	v_sub_f32_e32 v15, v24, v29
	v_fma_f32 v26, v28, 2.0, -v33
	v_fma_f32 v28, v42, 2.0, -v39
	;; [unrolled: 1-line block ×3, first 2 shown]
	v_add_f32_e32 v20, v34, v22
	v_fma_f32 v22, v23, 2.0, -v14
	v_fma_f32 v23, v24, 2.0, -v15
	v_sub_f32_e32 v24, v41, v25
	v_fma_f32 v50, v27, 2.0, -v31
	v_sub_f32_e32 v28, v36, v28
	v_fma_f32 v37, v37, 2.0, -v35
	v_dual_sub_f32 v19, v31, v32 :: v_dual_add_nc_u32 v42, 0x2600, v58
	s_delay_alu instid0(VALU_DEP_4)
	v_sub_f32_e32 v25, v50, v26
	v_fma_f32 v17, v21, 2.0, -v13
	v_dual_sub_f32 v21, v35, v39 :: v_dual_lshlrev_b32 v54, 3, v77
	v_sub_f32_e32 v29, v37, v29
	v_fma_f32 v26, v30, 2.0, -v18
	v_fma_f32 v27, v31, 2.0, -v19
	;; [unrolled: 1-line block ×8, first 2 shown]
	ds_store_2addr_b64 v43, v[14:15], v[12:13] offset0:34 offset1:51
	ds_store_2addr_b64 v43, v[22:23], v[16:17] offset1:17
	ds_store_2addr_b64 v67, v[24:25], v[18:19] offset0:34 offset1:51
	ds_store_2addr_b64 v67, v[32:33], v[26:27] offset1:17
	ds_store_2addr_b64 v70, v[34:35], v[30:31] offset1:17
	ds_store_2addr_b64 v70, v[28:29], v[20:21] offset0:34 offset1:51
	global_wb scope:SCOPE_SE
	s_wait_dscnt 0x0
	s_barrier_signal -1
	s_barrier_wait -1
	global_inv scope:SCOPE_SE
	s_clause 0x1
	global_load_b128 v[16:19], v79, s[8:9] offset:408
	global_load_b128 v[20:23], v69, s[8:9] offset:408
	v_and_b32_e32 v12, 0xffff, v73
	v_lshlrev_b32_e32 v13, 4, v65
	v_mul_u32_u24_e32 v15, 0x660, v76
	s_delay_alu instid0(VALU_DEP_3)
	v_lshlrev_b32_e32 v14, 4, v12
	s_clause 0x1
	global_load_b128 v[24:27], v13, s[8:9] offset:408
	global_load_b128 v[28:31], v14, s[8:9] offset:408
	ds_load_2addr_b64 v[32:35], v60 offset0:40 offset1:210
	v_and_b32_e32 v3, 0xffff, v3
	ds_load_2addr_b64 v[36:39], v75 offset0:80 offset1:250
	ds_load_2addr_b64 v[50:53], v2 offset0:60 offset1:230
	v_mul_u32_u24_e32 v13, 0x660, v66
	v_mul_u32_u24_e32 v14, 0x660, v68
	v_lshlrev_b32_e32 v60, 3, v78
	v_lshlrev_b32_e32 v12, 3, v12
	v_add_nc_u32_e32 v43, 0x1800, v58
	v_add_nc_u32_e32 v41, 0x3200, v58
	s_delay_alu instid0(VALU_DEP_4)
	v_add3_u32 v63, 0, v13, v60
	s_wait_loadcnt_dscnt 0x302
	v_mul_f32_e32 v66, v17, v33
	v_mul_u32_u24_e32 v3, 0x660, v3
	v_lshlrev_b32_e32 v61, 3, v65
	v_add3_u32 v65, 0, v15, v12
	s_wait_loadcnt 0x2
	v_mul_f32_e32 v68, v21, v35
	v_fmac_f32_e32 v66, v16, v32
	v_add3_u32 v3, 0, v3, v54
	ds_load_2addr_b64 v[54:57], v59 offset0:36 offset1:206
	v_add3_u32 v64, 0, v14, v61
	ds_load_2addr_b64 v[59:62], v58 offset1:170
	ds_load_2addr_b64 v[12:15], v74 offset0:84 offset1:254
	s_wait_loadcnt_dscnt 0x103
	v_dual_mul_f32 v70, v25, v51 :: v_dual_mul_f32 v67, v19, v37
	v_dual_mul_f32 v17, v17, v32 :: v_dual_fmac_f32 v68, v20, v34
	s_wait_loadcnt 0x0
	v_mul_f32_e32 v72, v53, v29
	s_delay_alu instid0(VALU_DEP_3) | instskip(SKIP_1) | instid1(VALU_DEP_3)
	v_dual_fmac_f32 v70, v24, v50 :: v_dual_fmac_f32 v67, v18, v36
	v_mul_f32_e32 v19, v19, v36
	v_dual_mul_f32 v21, v21, v34 :: v_dual_fmac_f32 v72, v52, v28
	v_fma_f32 v16, v16, v33, -v17
	global_wb scope:SCOPE_SE
	s_wait_dscnt 0x0
	v_fma_f32 v17, v18, v37, -v19
	v_mul_f32_e32 v69, v23, v39
	v_fma_f32 v18, v20, v35, -v21
	s_barrier_signal -1
	s_barrier_wait -1
	v_mul_f32_e32 v71, v55, v27
	v_dual_mul_f32 v27, v54, v27 :: v_dual_add_f32 v36, v12, v70
	v_mul_f32_e32 v23, v23, v38
	global_inv scope:SCOPE_SE
	v_fma_f32 v21, v22, v39, -v23
	v_mul_f32_e32 v25, v25, v50
	v_mul_f32_e32 v73, v57, v31
	;; [unrolled: 1-line block ×3, first 2 shown]
	v_fma_f32 v23, v55, v26, -v27
	v_sub_f32_e32 v32, v18, v21
	v_fma_f32 v19, v24, v51, -v25
	v_dual_mul_f32 v29, v52, v29 :: v_dual_add_f32 v52, v14, v72
	v_fma_f32 v27, v57, v30, -v31
	v_add_f32_e32 v24, v66, v67
	v_add_f32_e32 v34, v18, v21
	s_delay_alu instid0(VALU_DEP_4) | instskip(SKIP_3) | instid1(VALU_DEP_4)
	v_fma_f32 v20, v53, v28, -v29
	v_dual_add_f32 v28, v61, v68 :: v_dual_fmac_f32 v71, v54, v26
	v_dual_add_f32 v26, v16, v17 :: v_dual_fmac_f32 v69, v22, v38
	v_add_f32_e32 v50, v19, v23
	v_sub_f32_e32 v54, v20, v27
	s_delay_alu instid0(VALU_DEP_4)
	v_dual_add_f32 v37, v70, v71 :: v_dual_add_f32 v22, v59, v66
	v_fmac_f32_e32 v73, v56, v30
	v_sub_f32_e32 v29, v16, v17
	v_dual_add_f32 v33, v62, v18 :: v_dual_add_f32 v56, v20, v27
	v_sub_f32_e32 v38, v19, v23
	v_add_f32_e32 v55, v15, v20
	v_fma_f32 v18, -0.5, v24, v59
	v_add_f32_e32 v20, v28, v69
	v_fmac_f32_e32 v62, -0.5, v34
	v_fma_f32 v24, -0.5, v37, v12
	v_sub_f32_e32 v35, v68, v69
	v_add_f32_e32 v31, v68, v69
	v_dual_add_f32 v25, v60, v16 :: v_dual_fmamk_f32 v28, v29, 0xbf5db3d7, v18
	v_sub_f32_e32 v30, v66, v67
	v_add_f32_e32 v16, v22, v67
	v_add_f32_e32 v39, v13, v19
	;; [unrolled: 1-line block ×3, first 2 shown]
	v_fma_f32 v19, -0.5, v26, v60
	v_fma_f32 v61, -0.5, v31, v61
	v_dual_sub_f32 v51, v70, v71 :: v_dual_fmac_f32 v18, 0x3f5db3d7, v29
	v_add_f32_e32 v17, v25, v17
	v_fma_f32 v25, -0.5, v50, v13
	v_fmac_f32_e32 v15, -0.5, v56
	v_fmamk_f32 v29, v30, 0x3f5db3d7, v19
	v_fmac_f32_e32 v19, 0xbf5db3d7, v30
	v_fmamk_f32 v30, v32, 0xbf5db3d7, v61
	v_fmac_f32_e32 v61, 0x3f5db3d7, v32
	;; [unrolled: 2-line block ×3, first 2 shown]
	v_fma_f32 v14, -0.5, v53, v14
	v_sub_f32_e32 v57, v72, v73
	v_add_f32_e32 v21, v33, v21
	v_fmamk_f32 v31, v35, 0x3f5db3d7, v62
	v_fmac_f32_e32 v62, 0xbf5db3d7, v35
	v_add_f32_e32 v22, v36, v71
	v_dual_add_f32 v26, v52, v73 :: v_dual_add_f32 v23, v39, v23
	v_add_f32_e32 v27, v55, v27
	v_fmamk_f32 v33, v51, 0x3f5db3d7, v25
	v_dual_fmac_f32 v25, 0xbf5db3d7, v51 :: v_dual_fmamk_f32 v12, v54, 0xbf5db3d7, v14
	v_dual_fmac_f32 v14, 0x3f5db3d7, v54 :: v_dual_fmamk_f32 v13, v57, 0x3f5db3d7, v15
	v_fmac_f32_e32 v15, 0xbf5db3d7, v57
	ds_store_2addr_b64 v3, v[16:17], v[28:29] offset1:68
	ds_store_b64 v3, v[18:19] offset:1088
	ds_store_2addr_b64 v63, v[20:21], v[30:31] offset1:68
	ds_store_b64 v63, v[61:62] offset:1088
	;; [unrolled: 2-line block ×4, first 2 shown]
	global_wb scope:SCOPE_SE
	s_wait_dscnt 0x0
	s_barrier_signal -1
	s_barrier_wait -1
	global_inv scope:SCOPE_SE
	ds_load_2addr_b64 v[20:23], v58 offset1:204
	ds_load_2addr_b64 v[36:39], v47 offset0:24 offset1:228
	ds_load_2addr_b64 v[32:35], v43 offset0:48 offset1:252
	ds_load_2addr_b64 v[28:31], v42 offset0:8 offset1:212
	ds_load_2addr_b64 v[24:27], v41 offset0:32 offset1:236
                                        ; implicit-def: $vgpr19
	s_and_saveexec_b32 s1, s0
	s_cbranch_execz .LBB0_17
; %bb.16:
	v_add_nc_u32_e32 v0, 0x400, v58
	v_add_nc_u32_e32 v1, 0x1200, v58
	;; [unrolled: 1-line block ×4, first 2 shown]
	ds_load_2addr_b64 v[12:15], v0 offset0:42 offset1:246
	ds_load_2addr_b64 v[8:11], v1 offset0:2 offset1:206
	;; [unrolled: 1-line block ×5, first 2 shown]
.LBB0_17:
	s_wait_alu 0xfffe
	s_or_b32 exec_lo, exec_lo, s1
	v_mul_u32_u24_e32 v47, 9, v46
	s_delay_alu instid0(VALU_DEP_1)
	v_lshlrev_b32_e32 v47, 3, v47
	s_clause 0x4
	global_load_b128 v[50:53], v47, s[8:9] offset:1496
	global_load_b128 v[54:57], v47, s[8:9] offset:1512
	;; [unrolled: 1-line block ×4, first 2 shown]
	global_load_b64 v[67:68], v47, s[8:9] offset:1560
	v_add_nc_u32_e32 v47, 0xc00, v58
	global_wb scope:SCOPE_SE
	s_wait_loadcnt_dscnt 0x0
	s_barrier_signal -1
	s_barrier_wait -1
	global_inv scope:SCOPE_SE
	v_mul_f32_e32 v69, v51, v23
	v_dual_mul_f32 v51, v51, v22 :: v_dual_mul_f32 v74, v62, v29
	v_mul_f32_e32 v70, v53, v37
	v_mul_f32_e32 v53, v53, v36
	v_dual_mul_f32 v71, v55, v39 :: v_dual_mul_f32 v62, v62, v28
	v_dual_mul_f32 v55, v55, v38 :: v_dual_mul_f32 v76, v66, v25
	;; [unrolled: 1-line block ×4, first 2 shown]
	v_mul_f32_e32 v60, v60, v34
	v_mul_f32_e32 v64, v64, v30
	v_dual_fmac_f32 v69, v50, v22 :: v_dual_fmac_f32 v70, v52, v36
	v_mul_f32_e32 v57, v57, v32
	v_fma_f32 v22, v52, v37, -v53
	v_mul_f32_e32 v77, v27, v68
	v_mul_f32_e32 v68, v26, v68
	v_dual_fmac_f32 v71, v54, v38 :: v_dual_fmac_f32 v72, v56, v32
	v_dual_fmac_f32 v73, v59, v34 :: v_dual_fmac_f32 v74, v61, v28
	;; [unrolled: 1-line block ×3, first 2 shown]
	v_fma_f32 v50, v50, v23, -v51
	v_fma_f32 v23, v54, v39, -v55
	v_fma_f32 v28, v61, v29, -v62
	v_fma_f32 v29, v63, v31, -v64
	v_fma_f32 v24, v65, v25, -v66
	v_fmac_f32_e32 v77, v26, v67
	v_fma_f32 v25, v27, v67, -v68
	v_add_f32_e32 v26, v20, v70
	v_fma_f32 v32, v56, v33, -v57
	v_fma_f32 v33, v59, v35, -v60
	v_dual_add_f32 v27, v72, v74 :: v_dual_sub_f32 v30, v22, v24
	v_dual_sub_f32 v34, v70, v72 :: v_dual_sub_f32 v35, v76, v74
	v_dual_add_f32 v36, v70, v76 :: v_dual_sub_f32 v37, v72, v70
	v_dual_sub_f32 v38, v74, v76 :: v_dual_add_f32 v39, v21, v22
	v_dual_sub_f32 v31, v32, v28 :: v_dual_add_f32 v60, v73, v75
	v_dual_sub_f32 v52, v70, v76 :: v_dual_sub_f32 v53, v72, v74
	v_dual_sub_f32 v54, v22, v32 :: v_dual_add_f32 v59, v69, v71
	v_dual_sub_f32 v55, v24, v28 :: v_dual_sub_f32 v66, v73, v71
	v_dual_add_f32 v56, v22, v24 :: v_dual_sub_f32 v61, v23, v25
	v_dual_sub_f32 v57, v28, v24 :: v_dual_add_f32 v68, v50, v23
	v_dual_sub_f32 v62, v33, v29 :: v_dual_add_f32 v51, v32, v28
	;; [unrolled: 1-line block ×3, first 2 shown]
	v_dual_add_f32 v26, v26, v72 :: v_dual_sub_f32 v67, v75, v77
	v_add_f32_e32 v70, v33, v29
	v_sub_f32_e32 v79, v23, v33
	v_fma_f32 v72, -0.5, v27, v20
	s_delay_alu instid0(VALU_DEP_4)
	v_dual_add_f32 v26, v26, v74 :: v_dual_add_f32 v81, v23, v25
	v_add_f32_e32 v27, v34, v35
	v_fma_f32 v35, -0.5, v36, v20
	v_add_f32_e32 v20, v37, v38
	v_sub_f32_e32 v80, v25, v29
	v_dual_sub_f32 v22, v32, v22 :: v_dual_sub_f32 v63, v71, v73
	v_dual_sub_f32 v78, v73, v75 :: v_dual_sub_f32 v71, v71, v77
	v_add_f32_e32 v34, v54, v55
	v_dual_sub_f32 v23, v33, v23 :: v_dual_add_f32 v32, v39, v32
	v_fma_f32 v39, -0.5, v51, v21
	v_fma_f32 v37, -0.5, v56, v21
	;; [unrolled: 1-line block ×3, first 2 shown]
	v_dual_add_f32 v51, v66, v67 :: v_dual_sub_f32 v82, v29, v25
	v_add_f32_e32 v55, v79, v80
	s_delay_alu instid0(VALU_DEP_4)
	v_dual_add_f32 v33, v68, v33 :: v_dual_fmamk_f32 v60, v53, 0xbf737871, v37
	v_fma_f32 v54, -0.5, v70, v50
	v_fmamk_f32 v56, v30, 0xbf737871, v72
	v_dual_fmac_f32 v50, -0.5, v81 :: v_dual_add_f32 v23, v23, v82
	v_dual_add_f32 v21, v22, v57 :: v_dual_add_f32 v38, v63, v64
	v_add_f32_e32 v22, v59, v73
	v_dual_fmac_f32 v69, -0.5, v65 :: v_dual_fmac_f32 v72, 0x3f737871, v30
	v_dual_fmamk_f32 v57, v31, 0x3f737871, v35 :: v_dual_add_f32 v28, v32, v28
	v_fmac_f32_e32 v35, 0xbf737871, v31
	s_delay_alu instid0(VALU_DEP_4)
	v_dual_fmamk_f32 v59, v52, 0x3f737871, v39 :: v_dual_add_f32 v22, v22, v75
	v_dual_fmac_f32 v39, 0xbf737871, v52 :: v_dual_fmamk_f32 v32, v61, 0xbf737871, v36
	v_fmac_f32_e32 v37, 0x3f737871, v53
	v_dual_fmac_f32 v36, 0x3f737871, v61 :: v_dual_fmamk_f32 v63, v62, 0x3f737871, v69
	v_dual_add_f32 v29, v33, v29 :: v_dual_fmamk_f32 v64, v78, 0xbf737871, v50
	v_dual_fmamk_f32 v33, v71, 0x3f737871, v54 :: v_dual_add_f32 v26, v26, v76
	v_fmac_f32_e32 v50, 0x3f737871, v78
	v_dual_fmac_f32 v69, 0xbf737871, v62 :: v_dual_fmac_f32 v54, 0xbf737871, v71
	v_dual_add_f32 v24, v28, v24 :: v_dual_fmac_f32 v59, 0x3f167918, v53
	s_delay_alu instid0(VALU_DEP_2)
	v_dual_fmac_f32 v60, 0x3f167918, v52 :: v_dual_fmac_f32 v69, 0x3f167918, v61
	v_dual_fmac_f32 v37, 0xbf167918, v52 :: v_dual_add_f32 v22, v22, v77
	v_dual_fmac_f32 v36, 0x3f167918, v62 :: v_dual_add_f32 v25, v29, v25
	v_dual_fmac_f32 v33, 0x3f167918, v78 :: v_dual_fmac_f32 v64, 0x3f167918, v71
	v_fmac_f32_e32 v50, 0xbf167918, v71
	v_dual_fmac_f32 v56, 0xbf167918, v31 :: v_dual_fmac_f32 v57, 0xbf167918, v30
	v_dual_fmac_f32 v72, 0x3f167918, v31 :: v_dual_fmac_f32 v35, 0x3f167918, v30
	;; [unrolled: 1-line block ×5, first 2 shown]
	s_delay_alu instid0(VALU_DEP_3)
	v_dual_fmac_f32 v37, 0x3e9e377a, v21 :: v_dual_fmac_f32 v32, 0x3e9e377a, v38
	v_dual_fmac_f32 v64, 0x3e9e377a, v23 :: v_dual_add_f32 v21, v24, v25
	v_fmac_f32_e32 v50, 0x3e9e377a, v23
	v_dual_fmac_f32 v56, 0x3e9e377a, v27 :: v_dual_fmac_f32 v57, 0x3e9e377a, v20
	v_dual_fmac_f32 v72, 0x3e9e377a, v27 :: v_dual_fmac_f32 v35, 0x3e9e377a, v20
	;; [unrolled: 1-line block ×3, first 2 shown]
	v_dual_fmac_f32 v69, 0x3e9e377a, v51 :: v_dual_add_f32 v20, v26, v22
	v_dual_fmac_f32 v33, 0x3e9e377a, v55 :: v_dual_sub_f32 v22, v26, v22
	v_sub_f32_e32 v23, v24, v25
	v_mul_f32_e32 v53, 0x3e9e377a, v64
	v_dual_mul_f32 v38, 0xbf737871, v64 :: v_dual_mul_f32 v51, 0xbf737871, v50
	v_mul_f32_e32 v50, 0xbe9e377a, v50
	v_dual_fmac_f32 v39, 0x3e9e377a, v34 :: v_dual_fmac_f32 v54, 0x3e9e377a, v55
	s_delay_alu instid0(VALU_DEP_3) | instskip(NEXT) | instid1(VALU_DEP_3)
	v_fmac_f32_e32 v51, 0xbe9e377a, v69
	v_dual_fmac_f32 v53, 0x3f737871, v63 :: v_dual_fmac_f32 v50, 0x3f737871, v69
	v_mul_f32_e32 v34, 0xbf167918, v33
	s_delay_alu instid0(VALU_DEP_2) | instskip(NEXT) | instid1(VALU_DEP_3)
	v_dual_add_f32 v28, v35, v51 :: v_dual_add_f32 v27, v60, v53
	v_add_f32_e32 v29, v37, v50
	v_sub_f32_e32 v37, v37, v50
	s_delay_alu instid0(VALU_DEP_4) | instskip(NEXT) | instid1(VALU_DEP_1)
	v_dual_mul_f32 v33, 0x3f4f1bbd, v33 :: v_dual_fmac_f32 v34, 0x3f4f1bbd, v32
	v_dual_fmac_f32 v33, 0x3f167918, v32 :: v_dual_add_f32 v24, v56, v34
	v_mul_f32_e32 v52, 0xbf167918, v54
	v_mul_f32_e32 v54, 0xbf4f1bbd, v54
	s_delay_alu instid0(VALU_DEP_3) | instskip(NEXT) | instid1(VALU_DEP_3)
	v_dual_sub_f32 v32, v56, v34 :: v_dual_add_f32 v25, v59, v33
	v_dual_sub_f32 v33, v59, v33 :: v_dual_fmac_f32 v52, 0xbf4f1bbd, v36
	s_delay_alu instid0(VALU_DEP_3) | instskip(SKIP_2) | instid1(VALU_DEP_3)
	v_fmac_f32_e32 v54, 0x3f167918, v36
	v_dual_sub_f32 v36, v35, v51 :: v_dual_sub_f32 v35, v60, v53
	v_fmac_f32_e32 v38, 0x3e9e377a, v63
	v_dual_add_f32 v30, v72, v52 :: v_dual_add_f32 v31, v39, v54
	v_sub_f32_e32 v39, v39, v54
	s_delay_alu instid0(VALU_DEP_3)
	v_add_f32_e32 v26, v57, v38
	v_sub_f32_e32 v34, v57, v38
	v_sub_f32_e32 v38, v72, v52
	ds_store_2addr_b64 v58, v[20:21], v[24:25] offset1:204
	ds_store_2addr_b64 v47, v[26:27], v[28:29] offset0:24 offset1:228
	ds_store_2addr_b64 v43, v[30:31], v[22:23] offset0:48 offset1:252
	;; [unrolled: 1-line block ×4, first 2 shown]
	s_and_saveexec_b32 s1, s0
	s_cbranch_execz .LBB0_19
; %bb.18:
	v_subrev_nc_u32_e32 v20, 34, v46
	v_dual_mov_b32 v21, 0 :: v_dual_add_nc_u32 v38, 0x400, v58
	s_delay_alu instid0(VALU_DEP_2) | instskip(NEXT) | instid1(VALU_DEP_1)
	v_cndmask_b32_e64 v20, v20, v40, s0
	v_mul_i32_i24_e32 v20, 9, v20
	s_delay_alu instid0(VALU_DEP_1) | instskip(NEXT) | instid1(VALU_DEP_1)
	v_lshlrev_b64_e32 v[20:21], 3, v[20:21]
	v_add_co_u32 v36, s0, s8, v20
	s_wait_alu 0xf1ff
	s_delay_alu instid0(VALU_DEP_2)
	v_add_co_ci_u32_e64 v37, s0, s9, v21, s0
	s_clause 0x4
	global_load_b128 v[20:23], v[36:37], off offset:1496
	global_load_b128 v[24:27], v[36:37], off offset:1512
	;; [unrolled: 1-line block ×4, first 2 shown]
	global_load_b64 v[36:37], v[36:37], off offset:1560
	v_add_nc_u32_e32 v41, 0x2a00, v58
	v_add_nc_u32_e32 v39, 0x1200, v58
	;; [unrolled: 1-line block ×3, first 2 shown]
	s_wait_loadcnt 0x4
	v_dual_mul_f32 v43, v8, v23 :: v_dual_add_nc_u32 v42, 0x3800, v58
	s_wait_loadcnt 0x3
	v_dual_mul_f32 v47, v4, v27 :: v_dual_mul_f32 v52, v11, v25
	s_wait_loadcnt 0x0
	v_dual_mul_f32 v51, v0, v35 :: v_dual_mul_f32 v54, v19, v37
	v_mul_f32_e32 v50, v16, v31
	v_dual_mul_f32 v23, v9, v23 :: v_dual_mul_f32 v56, v15, v21
	v_dual_mul_f32 v31, v17, v31 :: v_dual_fmac_f32 v52, v10, v24
	s_delay_alu instid0(VALU_DEP_4) | instskip(NEXT) | instid1(VALU_DEP_3)
	v_dual_mul_f32 v27, v5, v27 :: v_dual_fmac_f32 v54, v18, v36
	v_dual_mul_f32 v35, v1, v35 :: v_dual_fmac_f32 v56, v14, v20
	v_mul_f32_e32 v55, v3, v29
	v_fma_f32 v9, v9, v22, -v43
	v_fma_f32 v5, v5, v26, -v47
	;; [unrolled: 1-line block ×4, first 2 shown]
	v_fmac_f32_e32 v35, v0, v34
	v_dual_fmac_f32 v55, v2, v28 :: v_dual_add_f32 v34, v52, v54
	v_mul_f32_e32 v53, v7, v33
	v_dual_fmac_f32 v31, v16, v30 :: v_dual_add_f32 v30, v9, v17
	s_delay_alu instid0(VALU_DEP_3) | instskip(NEXT) | instid1(VALU_DEP_3)
	v_dual_sub_f32 v16, v54, v55 :: v_dual_fmac_f32 v23, v8, v22
	v_dual_sub_f32 v8, v17, v1 :: v_dual_fmac_f32 v53, v6, v32
	v_mul_f32_e32 v37, v18, v37
	v_mul_f32_e32 v29, v2, v29
	s_delay_alu instid0(VALU_DEP_3) | instskip(NEXT) | instid1(VALU_DEP_3)
	v_dual_mul_f32 v21, v14, v21 :: v_dual_add_f32 v18, v53, v55
	v_fma_f32 v2, v19, v36, -v37
	v_dual_fmac_f32 v27, v4, v26 :: v_dual_sub_f32 v26, v53, v55
	s_delay_alu instid0(VALU_DEP_4) | instskip(SKIP_2) | instid1(VALU_DEP_3)
	v_fma_f32 v3, v3, v28, -v29
	v_mul_f32_e32 v33, v6, v33
	v_sub_f32_e32 v28, v5, v9
	v_dual_sub_f32 v29, v1, v17 :: v_dual_sub_f32 v22, v2, v3
	v_dual_mul_f32 v25, v10, v25 :: v_dual_sub_f32 v14, v27, v35
	s_delay_alu instid0(VALU_DEP_4) | instskip(SKIP_2) | instid1(VALU_DEP_4)
	v_fma_f32 v4, v7, v32, -v33
	v_add_f32_e32 v10, v5, v1
	v_sub_f32_e32 v32, v53, v52
	v_fma_f32 v0, v11, v24, -v25
	v_fma_f32 v6, v15, v20, -v21
	v_sub_f32_e32 v7, v9, v5
	v_dual_sub_f32 v15, v52, v53 :: v_dual_sub_f32 v50, v23, v27
	s_delay_alu instid0(VALU_DEP_4)
	v_dual_sub_f32 v21, v0, v4 :: v_dual_add_f32 v62, v23, v31
	v_add_f32_e32 v24, v4, v3
	v_sub_f32_e32 v11, v23, v31
	v_dual_sub_f32 v19, v0, v2 :: v_dual_sub_f32 v60, v27, v23
	v_sub_f32_e32 v25, v52, v54
	v_dual_sub_f32 v36, v4, v0 :: v_dual_sub_f32 v51, v31, v35
	v_add_f32_e32 v7, v7, v8
	v_add_f32_e32 v8, v15, v16
	v_fma_f32 v15, -0.5, v18, v56
	v_add_f32_e32 v16, v21, v22
	v_dual_add_f32 v43, v0, v2 :: v_dual_add_f32 v0, v6, v0
	v_fma_f32 v18, -0.5, v24, v6
	v_dual_sub_f32 v20, v4, v3 :: v_dual_sub_f32 v37, v3, v2
	v_dual_sub_f32 v61, v35, v31 :: v_dual_add_f32 v52, v56, v52
	v_fma_f32 v10, -0.5, v10, v13
	v_add_f32_e32 v47, v13, v9
	v_fma_f32 v22, -0.5, v30, v13
	v_fma_f32 v24, -0.5, v34, v56
	v_add_f32_e32 v23, v12, v23
	v_dual_add_f32 v0, v0, v4 :: v_dual_sub_f32 v33, v55, v54
	v_dual_fmamk_f32 v34, v25, 0xbf737871, v18 :: v_dual_add_f32 v57, v27, v35
	v_add_f32_e32 v30, v60, v61
	v_sub_f32_e32 v9, v9, v17
	v_sub_f32_e32 v59, v5, v1
	v_add_f32_e32 v21, v28, v29
	v_add_f32_e32 v28, v36, v37
	v_fma_f32 v29, -0.5, v57, v12
	v_fma_f32 v12, -0.5, v62, v12
	v_fmamk_f32 v36, v14, 0x3f737871, v22
	v_fmamk_f32 v37, v20, 0xbf737871, v24
	v_dual_fmac_f32 v22, 0xbf737871, v14 :: v_dual_add_f32 v13, v32, v33
	v_fmamk_f32 v32, v11, 0xbf737871, v10
	v_dual_add_f32 v5, v47, v5 :: v_dual_add_f32 v0, v0, v3
	v_dual_fmac_f32 v24, 0x3f737871, v20 :: v_dual_add_f32 v23, v23, v27
	v_fmac_f32_e32 v18, 0x3f737871, v25
	v_dual_add_f32 v27, v52, v53 :: v_dual_add_f32 v4, v50, v51
	v_fma_f32 v6, -0.5, v43, v6
	v_dual_add_f32 v1, v5, v1 :: v_dual_fmac_f32 v32, 0xbf167918, v14
	v_fmamk_f32 v50, v59, 0xbf737871, v12
	v_fmac_f32_e32 v12, 0x3f737871, v59
	v_dual_add_f32 v3, v23, v35 :: v_dual_fmac_f32 v34, 0xbf167918, v26
	v_add_f32_e32 v5, v27, v55
	v_fmamk_f32 v47, v9, 0x3f737871, v29
	v_fmac_f32_e32 v29, 0xbf737871, v9
	v_fmac_f32_e32 v50, 0x3f167918, v9
	v_dual_fmac_f32 v12, 0xbf167918, v9 :: v_dual_add_f32 v9, v3, v31
	v_add_f32_e32 v5, v5, v54
	v_fmamk_f32 v43, v26, 0x3f737871, v6
	v_fmac_f32_e32 v6, 0xbf737871, v26
	v_dual_fmamk_f32 v33, v19, 0x3f737871, v15 :: v_dual_add_f32 v2, v0, v2
	v_fmac_f32_e32 v10, 0x3f737871, v11
	v_fmac_f32_e32 v36, 0xbf167918, v11
	s_delay_alu instid0(VALU_DEP_3) | instskip(SKIP_2) | instid1(VALU_DEP_3)
	v_dual_fmac_f32 v6, 0x3f167918, v25 :: v_dual_fmac_f32 v33, 0x3f167918, v20
	v_fmac_f32_e32 v22, 0x3f167918, v11
	v_dual_fmac_f32 v18, 0x3f167918, v26 :: v_dual_add_f32 v11, v1, v17
	v_fmac_f32_e32 v6, 0x3e9e377a, v28
	v_fmac_f32_e32 v10, 0x3f167918, v14
	;; [unrolled: 1-line block ×3, first 2 shown]
	s_delay_alu instid0(VALU_DEP_4)
	v_dual_fmac_f32 v18, 0x3e9e377a, v16 :: v_dual_add_f32 v3, v11, v2
	v_sub_f32_e32 v1, v11, v2
	v_dual_fmac_f32 v15, 0xbf737871, v19 :: v_dual_sub_f32 v0, v9, v5
	v_fmac_f32_e32 v37, 0x3f167918, v19
	v_fmac_f32_e32 v34, 0x3e9e377a, v16
	v_add_f32_e32 v2, v9, v5
	v_fmac_f32_e32 v43, 0xbf167918, v25
	v_mul_f32_e32 v16, 0x3e9e377a, v6
	v_mul_f32_e32 v6, 0xbf737871, v6
	v_dual_fmac_f32 v24, 0xbf167918, v19 :: v_dual_fmac_f32 v15, 0xbf167918, v20
	v_fmac_f32_e32 v29, 0xbf167918, v59
	v_dual_fmac_f32 v33, 0x3e9e377a, v8 :: v_dual_fmac_f32 v36, 0x3e9e377a, v21
	v_fmac_f32_e32 v37, 0x3e9e377a, v13
	v_dual_fmac_f32 v43, 0x3e9e377a, v28 :: v_dual_fmac_f32 v22, 0x3e9e377a, v21
	v_dual_fmac_f32 v24, 0x3e9e377a, v13 :: v_dual_fmac_f32 v15, 0x3e9e377a, v8
	v_mul_f32_e32 v20, 0xbf167918, v34
	v_mul_f32_e32 v13, 0xbf4f1bbd, v34
	v_dual_fmac_f32 v50, 0x3e9e377a, v30 :: v_dual_fmac_f32 v29, 0x3e9e377a, v4
	s_delay_alu instid0(VALU_DEP_3) | instskip(NEXT) | instid1(VALU_DEP_3)
	v_fmac_f32_e32 v20, 0xbf4f1bbd, v33
	v_fmac_f32_e32 v13, 0x3f167918, v33
	;; [unrolled: 1-line block ×3, first 2 shown]
	s_delay_alu instid0(VALU_DEP_2) | instskip(SKIP_2) | instid1(VALU_DEP_2)
	v_dual_fmac_f32 v6, 0x3e9e377a, v24 :: v_dual_sub_f32 v5, v32, v13
	v_mul_f32_e32 v21, 0xbf737871, v43
	v_mul_f32_e32 v14, 0xbe9e377a, v43
	v_dual_sub_f32 v8, v12, v6 :: v_dual_fmac_f32 v21, 0xbe9e377a, v37
	v_mul_f32_e32 v19, 0x3f4f1bbd, v18
	s_delay_alu instid0(VALU_DEP_3) | instskip(SKIP_2) | instid1(VALU_DEP_4)
	v_fmac_f32_e32 v14, 0x3f737871, v37
	v_fmac_f32_e32 v47, 0x3f167918, v59
	;; [unrolled: 1-line block ×4, first 2 shown]
	s_delay_alu instid0(VALU_DEP_4) | instskip(NEXT) | instid1(VALU_DEP_4)
	v_sub_f32_e32 v7, v36, v14
	v_fmac_f32_e32 v47, 0x3e9e377a, v4
	v_mul_f32_e32 v23, 0xbf167918, v18
	s_delay_alu instid0(VALU_DEP_4) | instskip(NEXT) | instid1(VALU_DEP_3)
	v_dual_sub_f32 v11, v10, v19 :: v_dual_fmac_f32 v16, 0x3f737871, v24
	v_sub_f32_e32 v4, v47, v20
	s_delay_alu instid0(VALU_DEP_2)
	v_sub_f32_e32 v9, v22, v16
	v_dual_add_f32 v17, v22, v16 :: v_dual_add_f32 v16, v12, v6
	v_dual_add_f32 v12, v47, v20 :: v_dual_fmac_f32 v23, 0x3f4f1bbd, v15
	v_sub_f32_e32 v6, v50, v21
	v_add_f32_e32 v19, v10, v19
	v_dual_add_f32 v15, v36, v14 :: v_dual_add_f32 v14, v50, v21
	s_delay_alu instid0(VALU_DEP_4)
	v_sub_f32_e32 v10, v29, v23
	v_dual_add_f32 v18, v29, v23 :: v_dual_add_f32 v13, v32, v13
	ds_store_2addr_b64 v38, v[2:3], v[18:19] offset0:42 offset1:246
	ds_store_2addr_b64 v39, v[16:17], v[14:15] offset0:2 offset1:206
	;; [unrolled: 1-line block ×5, first 2 shown]
.LBB0_19:
	s_wait_alu 0xfffe
	s_or_b32 exec_lo, exec_lo, s1
	global_wb scope:SCOPE_SE
	s_wait_dscnt 0x0
	s_barrier_signal -1
	s_barrier_wait -1
	global_inv scope:SCOPE_SE
	ds_load_b64 v[2:3], v58
	v_lshlrev_b32_e32 v0, 3, v46
	s_mov_b32 s1, exec_lo
                                        ; implicit-def: $vgpr7
                                        ; implicit-def: $vgpr8
                                        ; implicit-def: $vgpr4_vgpr5
	s_delay_alu instid0(VALU_DEP_1)
	v_sub_nc_u32_e32 v6, 0, v0
                                        ; implicit-def: $vgpr0
	v_cmpx_ne_u32_e32 0, v46
	s_wait_alu 0xfffe
	s_xor_b32 s1, exec_lo, s1
	s_cbranch_execz .LBB0_21
; %bb.20:
	ds_load_b64 v[4:5], v6 offset:16320
	s_wait_dscnt 0x0
	v_dual_mov_b32 v47, 0 :: v_dual_add_f32 v8, v5, v3
	s_delay_alu instid0(VALU_DEP_1) | instskip(SKIP_2) | instid1(VALU_DEP_2)
	v_lshlrev_b64_e32 v[0:1], 3, v[46:47]
	v_dual_sub_f32 v7, v2, v4 :: v_dual_add_f32 v2, v4, v2
	v_sub_f32_e32 v3, v3, v5
	v_mul_f32_e32 v5, 0.5, v7
	s_delay_alu instid0(VALU_DEP_4)
	v_add_co_u32 v0, s0, s8, v0
	s_wait_alu 0xf1ff
	v_add_co_ci_u32_e64 v1, s0, s9, v1, s0
	v_mul_f32_e32 v3, 0.5, v3
	global_load_b64 v[0:1], v[0:1], off offset:16184
	s_wait_loadcnt 0x0
	v_dual_mul_f32 v9, 0.5, v8 :: v_dual_mul_f32 v4, v1, v5
	s_delay_alu instid0(VALU_DEP_1) | instskip(SKIP_1) | instid1(VALU_DEP_3)
	v_fma_f32 v8, v9, v1, v3
	v_fma_f32 v1, v9, v1, -v3
	v_fma_f32 v7, 0.5, v2, v4
	v_fma_f32 v2, v2, 0.5, -v4
	s_delay_alu instid0(VALU_DEP_4) | instskip(NEXT) | instid1(VALU_DEP_4)
	v_fma_f32 v8, -v0, v5, v8
	v_fma_f32 v1, -v0, v5, v1
	s_delay_alu instid0(VALU_DEP_4) | instskip(NEXT) | instid1(VALU_DEP_4)
	v_dual_mov_b32 v4, v46 :: v_dual_fmac_f32 v7, v0, v9
	v_fma_f32 v0, -v0, v9, v2
	v_mov_b32_e32 v5, v47
                                        ; implicit-def: $vgpr2_vgpr3
.LBB0_21:
	s_wait_alu 0xfffe
	s_and_not1_saveexec_b32 s0, s1
	s_cbranch_execz .LBB0_23
; %bb.22:
	s_wait_dscnt 0x0
	v_dual_mov_b32 v8, 0 :: v_dual_add_f32 v7, v2, v3
	v_mov_b32_e32 v4, 0
	v_dual_sub_f32 v0, v2, v3 :: v_dual_mov_b32 v5, 0
	ds_load_b32 v1, v8 offset:8164
	s_wait_dscnt 0x0
	v_xor_b32_e32 v2, 0x80000000, v1
	v_mov_b32_e32 v1, 0
	ds_store_b32 v8, v2 offset:8164
.LBB0_23:
	s_wait_alu 0xfffe
	s_or_b32 exec_lo, exec_lo, s0
	s_wait_dscnt 0x0
	v_lshlrev_b64_e32 v[2:3], 3, v[4:5]
	s_add_nc_u64 s[0:1], s[8:9], 0x3f38
	s_wait_alu 0xfffe
	s_delay_alu instid0(VALU_DEP_1) | instskip(SKIP_1) | instid1(VALU_DEP_2)
	v_add_co_u32 v2, s0, s0, v2
	s_wait_alu 0xf1ff
	v_add_co_ci_u32_e64 v3, s0, s1, v3, s0
	s_clause 0x4
	global_load_b64 v[4:5], v[2:3], off offset:1360
	global_load_b64 v[9:10], v[2:3], off offset:2720
	;; [unrolled: 1-line block ×5, first 2 shown]
	ds_store_2addr_b32 v58, v7, v8 offset1:1
	ds_store_b64 v6, v[0:1] offset:16320
	ds_load_b64 v[0:1], v58 offset:1360
	ds_load_b64 v[7:8], v6 offset:14960
	s_wait_dscnt 0x0
	v_dual_sub_f32 v15, v0, v7 :: v_dual_add_f32 v16, v1, v8
	v_dual_sub_f32 v1, v1, v8 :: v_dual_add_f32 v0, v0, v7
	s_delay_alu instid0(VALU_DEP_2) | instskip(NEXT) | instid1(VALU_DEP_2)
	v_dual_mul_f32 v8, 0.5, v15 :: v_dual_mul_f32 v15, 0.5, v16
	v_mul_f32_e32 v1, 0.5, v1
	s_wait_loadcnt 0x4
	s_delay_alu instid0(VALU_DEP_2) | instskip(NEXT) | instid1(VALU_DEP_2)
	v_mul_f32_e32 v7, v5, v8
	v_fma_f32 v16, v15, v5, v1
	v_fma_f32 v1, v15, v5, -v1
	s_delay_alu instid0(VALU_DEP_3)
	v_fma_f32 v5, 0.5, v0, v7
	v_fma_f32 v0, v0, 0.5, -v7
	v_add_nc_u32_e32 v7, 0x400, v58
	v_fma_f32 v16, -v4, v8, v16
	v_fma_f32 v1, -v4, v8, v1
	v_fmac_f32_e32 v5, v4, v15
	v_fma_f32 v0, -v4, v15, v0
	ds_store_2addr_b32 v7, v5, v16 offset0:84 offset1:85
	ds_store_b64 v6, v[0:1] offset:14960
	ds_load_b64 v[0:1], v58 offset:2720
	ds_load_b64 v[4:5], v6 offset:13600
	s_wait_dscnt 0x0
	v_dual_sub_f32 v7, v0, v4 :: v_dual_add_f32 v8, v1, v5
	v_dual_sub_f32 v1, v1, v5 :: v_dual_add_f32 v0, v0, v4
	s_delay_alu instid0(VALU_DEP_2) | instskip(NEXT) | instid1(VALU_DEP_3)
	v_mul_f32_e32 v5, 0.5, v7
	v_mul_f32_e32 v7, 0.5, v8
	s_delay_alu instid0(VALU_DEP_3) | instskip(SKIP_1) | instid1(VALU_DEP_3)
	v_mul_f32_e32 v1, 0.5, v1
	s_wait_loadcnt 0x3
	v_mul_f32_e32 v4, v10, v5
	s_delay_alu instid0(VALU_DEP_2) | instskip(SKIP_1) | instid1(VALU_DEP_3)
	v_fma_f32 v8, v7, v10, v1
	v_fma_f32 v1, v7, v10, -v1
	v_fma_f32 v10, 0.5, v0, v4
	v_fma_f32 v0, v0, 0.5, -v4
	v_add_nc_u32_e32 v4, 0x800, v58
	v_fma_f32 v8, -v9, v5, v8
	v_fma_f32 v1, -v9, v5, v1
	v_fmac_f32_e32 v10, v9, v7
	v_fma_f32 v0, -v9, v7, v0
	ds_store_2addr_b32 v4, v10, v8 offset0:168 offset1:169
	ds_store_b64 v6, v[0:1] offset:13600
	ds_load_b64 v[0:1], v58 offset:4080
	ds_load_b64 v[4:5], v6 offset:12240
	s_wait_dscnt 0x0
	v_dual_sub_f32 v7, v0, v4 :: v_dual_add_f32 v8, v1, v5
	v_dual_sub_f32 v1, v1, v5 :: v_dual_add_f32 v0, v0, v4
	s_delay_alu instid0(VALU_DEP_2) | instskip(NEXT) | instid1(VALU_DEP_3)
	v_mul_f32_e32 v5, 0.5, v7
	v_mul_f32_e32 v7, 0.5, v8
	s_delay_alu instid0(VALU_DEP_3) | instskip(SKIP_1) | instid1(VALU_DEP_3)
	v_mul_f32_e32 v1, 0.5, v1
	s_wait_loadcnt 0x2
	v_mul_f32_e32 v4, v12, v5
	s_delay_alu instid0(VALU_DEP_2) | instskip(SKIP_1) | instid1(VALU_DEP_3)
	v_fma_f32 v8, v7, v12, v1
	v_fma_f32 v1, v7, v12, -v1
	;; [unrolled: 24-line block ×4, first 2 shown]
	v_fma_f32 v3, 0.5, v0, v4
	v_fma_f32 v0, v0, 0.5, -v4
	v_add_nc_u32_e32 v4, 0x1800, v58
	v_fma_f32 v8, -v2, v5, v8
	v_fma_f32 v1, -v2, v5, v1
	v_fmac_f32_e32 v3, v2, v7
	v_fma_f32 v0, -v2, v7, v0
	ds_store_2addr_b32 v4, v3, v8 offset0:164 offset1:165
	ds_store_b64 v6, v[0:1] offset:9520
	global_wb scope:SCOPE_SE
	s_wait_dscnt 0x0
	s_barrier_signal -1
	s_barrier_wait -1
	global_inv scope:SCOPE_SE
	s_and_saveexec_b32 s0, vcc_lo
	s_cbranch_execz .LBB0_26
; %bb.24:
	v_mul_lo_u32 v2, s3, v48
	v_mul_lo_u32 v3, s2, v49
	v_mad_co_u64_u32 v[0:1], null, s2, v48, 0
	v_dual_mov_b32 v47, 0 :: v_dual_add_nc_u32 v8, 0xaa, v46
	v_lshl_add_u32 v20, v46, 3, 0
	v_lshlrev_b64_e32 v[6:7], 3, v[44:45]
	s_delay_alu instid0(VALU_DEP_3) | instskip(SKIP_1) | instid1(VALU_DEP_4)
	v_dual_mov_b32 v9, v47 :: v_dual_add_nc_u32 v10, 0x154, v46
	v_add3_u32 v1, v1, v3, v2
	v_dual_mov_b32 v11, v47 :: v_dual_add_nc_u32 v16, 0x800, v20
	ds_load_2addr_b64 v[2:5], v20 offset1:170
	v_lshlrev_b64_e32 v[12:13], 3, v[46:47]
	v_lshlrev_b64_e32 v[0:1], 3, v[0:1]
	v_lshlrev_b64_e32 v[14:15], 3, v[8:9]
	v_lshlrev_b64_e32 v[10:11], 3, v[10:11]
	v_dual_mov_b32 v19, v47 :: v_dual_add_nc_u32 v18, 0x2a8, v46
	v_add_nc_u32_e32 v21, 0x1400, v20
	v_add_co_u32 v0, vcc_lo, s6, v0
	s_wait_alu 0xfffd
	v_add_co_ci_u32_e32 v1, vcc_lo, s7, v1, vcc_lo
	v_mov_b32_e32 v17, v47
	s_delay_alu instid0(VALU_DEP_3) | instskip(SKIP_1) | instid1(VALU_DEP_3)
	v_add_co_u32 v0, vcc_lo, v0, v6
	s_wait_alu 0xfffd
	v_add_co_ci_u32_e32 v1, vcc_lo, v1, v7, vcc_lo
	ds_load_2addr_b64 v[6:9], v16 offset0:84 offset1:254
	v_add_nc_u32_e32 v16, 0x1fe, v46
	v_add_co_u32 v12, vcc_lo, v0, v12
	s_wait_alu 0xfffd
	v_add_co_ci_u32_e32 v13, vcc_lo, v1, v13, vcc_lo
	v_add_co_u32 v14, vcc_lo, v0, v14
	v_lshlrev_b64_e32 v[16:17], 3, v[16:17]
	s_wait_alu 0xfffd
	v_add_co_ci_u32_e32 v15, vcc_lo, v1, v15, vcc_lo
	v_add_co_u32 v10, vcc_lo, v0, v10
	s_wait_alu 0xfffd
	v_add_co_ci_u32_e32 v11, vcc_lo, v1, v11, vcc_lo
	v_add_co_u32 v16, vcc_lo, v0, v16
	s_wait_alu 0xfffd
	v_add_co_ci_u32_e32 v17, vcc_lo, v1, v17, vcc_lo
	s_wait_dscnt 0x1
	s_clause 0x1
	global_store_b64 v[12:13], v[2:3], off
	global_store_b64 v[14:15], v[4:5], off
	s_wait_dscnt 0x0
	s_clause 0x1
	global_store_b64 v[10:11], v[6:7], off
	global_store_b64 v[16:17], v[8:9], off
	v_lshlrev_b64_e32 v[6:7], 3, v[18:19]
	v_dual_mov_b32 v9, v47 :: v_dual_add_nc_u32 v8, 0x352, v46
	v_dual_mov_b32 v17, v47 :: v_dual_add_nc_u32 v16, 0x1e00, v20
	ds_load_2addr_b64 v[2:5], v21 offset0:40 offset1:210
	v_add_co_u32 v12, vcc_lo, v0, v6
	v_dual_mov_b32 v11, v47 :: v_dual_add_nc_u32 v10, 0x3fc, v46
	s_wait_alu 0xfffd
	v_add_co_ci_u32_e32 v13, vcc_lo, v1, v7, vcc_lo
	v_lshlrev_b64_e32 v[14:15], 3, v[8:9]
	ds_load_2addr_b64 v[6:9], v16 offset0:60 offset1:230
	v_add_nc_u32_e32 v16, 0x4a6, v46
	v_lshlrev_b64_e32 v[10:11], 3, v[10:11]
	v_add_nc_u32_e32 v18, 0x550, v46
	v_add_nc_u32_e32 v21, 0x2800, v20
	v_add_co_u32 v14, vcc_lo, v0, v14
	v_lshlrev_b64_e32 v[16:17], 3, v[16:17]
	s_wait_alu 0xfffd
	v_add_co_ci_u32_e32 v15, vcc_lo, v1, v15, vcc_lo
	v_add_co_u32 v10, vcc_lo, v0, v10
	s_wait_alu 0xfffd
	v_add_co_ci_u32_e32 v11, vcc_lo, v1, v11, vcc_lo
	v_add_co_u32 v16, vcc_lo, v0, v16
	s_wait_alu 0xfffd
	v_add_co_ci_u32_e32 v17, vcc_lo, v1, v17, vcc_lo
	s_wait_dscnt 0x1
	s_clause 0x1
	global_store_b64 v[12:13], v[2:3], off
	global_store_b64 v[14:15], v[4:5], off
	s_wait_dscnt 0x0
	s_clause 0x1
	global_store_b64 v[10:11], v[6:7], off
	global_store_b64 v[16:17], v[8:9], off
	v_mov_b32_e32 v11, v47
	v_lshlrev_b64_e32 v[6:7], 3, v[18:19]
	v_dual_mov_b32 v17, v47 :: v_dual_add_nc_u32 v8, 0x5fa, v46
	v_dual_mov_b32 v9, v47 :: v_dual_add_nc_u32 v16, 0x3400, v20
	v_add_nc_u32_e32 v10, 0x6a4, v46
	s_delay_alu instid0(VALU_DEP_4)
	v_add_co_u32 v12, vcc_lo, v0, v6
	ds_load_2addr_b64 v[2:5], v21 offset0:80 offset1:250
	v_lshlrev_b64_e32 v[14:15], 3, v[8:9]
	s_wait_alu 0xfffd
	v_add_co_ci_u32_e32 v13, vcc_lo, v1, v7, vcc_lo
	ds_load_2addr_b64 v[6:9], v16 offset0:36 offset1:206
	v_add_nc_u32_e32 v16, 0x74e, v46
	v_lshlrev_b64_e32 v[10:11], 3, v[10:11]
	v_add_co_u32 v14, vcc_lo, v0, v14
	s_wait_alu 0xfffd
	v_add_co_ci_u32_e32 v15, vcc_lo, v1, v15, vcc_lo
	v_lshlrev_b64_e32 v[16:17], 3, v[16:17]
	s_delay_alu instid0(VALU_DEP_4) | instskip(SKIP_2) | instid1(VALU_DEP_3)
	v_add_co_u32 v10, vcc_lo, v0, v10
	s_wait_alu 0xfffd
	v_add_co_ci_u32_e32 v11, vcc_lo, v1, v11, vcc_lo
	v_add_co_u32 v16, vcc_lo, v0, v16
	s_wait_alu 0xfffd
	v_add_co_ci_u32_e32 v17, vcc_lo, v1, v17, vcc_lo
	v_cmp_eq_u32_e32 vcc_lo, 0xa9, v46
	s_wait_dscnt 0x1
	s_clause 0x1
	global_store_b64 v[12:13], v[2:3], off
	global_store_b64 v[14:15], v[4:5], off
	s_wait_dscnt 0x0
	s_clause 0x1
	global_store_b64 v[10:11], v[6:7], off
	global_store_b64 v[16:17], v[8:9], off
	s_and_b32 exec_lo, exec_lo, vcc_lo
	s_cbranch_execz .LBB0_26
; %bb.25:
	ds_load_b64 v[2:3], v47 offset:16320
	s_wait_dscnt 0x0
	global_store_b64 v[0:1], v[2:3], off offset:16320
.LBB0_26:
	s_nop 0
	s_sendmsg sendmsg(MSG_DEALLOC_VGPRS)
	s_endpgm
	.section	.rodata,"a",@progbits
	.p2align	6, 0x0
	.amdhsa_kernel fft_rtc_back_len2040_factors_17_4_3_10_wgs_170_tpt_170_halfLds_sp_op_CI_CI_unitstride_sbrr_R2C_dirReg
		.amdhsa_group_segment_fixed_size 0
		.amdhsa_private_segment_fixed_size 0
		.amdhsa_kernarg_size 104
		.amdhsa_user_sgpr_count 2
		.amdhsa_user_sgpr_dispatch_ptr 0
		.amdhsa_user_sgpr_queue_ptr 0
		.amdhsa_user_sgpr_kernarg_segment_ptr 1
		.amdhsa_user_sgpr_dispatch_id 0
		.amdhsa_user_sgpr_private_segment_size 0
		.amdhsa_wavefront_size32 1
		.amdhsa_uses_dynamic_stack 0
		.amdhsa_enable_private_segment 0
		.amdhsa_system_sgpr_workgroup_id_x 1
		.amdhsa_system_sgpr_workgroup_id_y 0
		.amdhsa_system_sgpr_workgroup_id_z 0
		.amdhsa_system_sgpr_workgroup_info 0
		.amdhsa_system_vgpr_workitem_id 0
		.amdhsa_next_free_vgpr 201
		.amdhsa_next_free_sgpr 39
		.amdhsa_reserve_vcc 1
		.amdhsa_float_round_mode_32 0
		.amdhsa_float_round_mode_16_64 0
		.amdhsa_float_denorm_mode_32 3
		.amdhsa_float_denorm_mode_16_64 3
		.amdhsa_fp16_overflow 0
		.amdhsa_workgroup_processor_mode 1
		.amdhsa_memory_ordered 1
		.amdhsa_forward_progress 0
		.amdhsa_round_robin_scheduling 0
		.amdhsa_exception_fp_ieee_invalid_op 0
		.amdhsa_exception_fp_denorm_src 0
		.amdhsa_exception_fp_ieee_div_zero 0
		.amdhsa_exception_fp_ieee_overflow 0
		.amdhsa_exception_fp_ieee_underflow 0
		.amdhsa_exception_fp_ieee_inexact 0
		.amdhsa_exception_int_div_zero 0
	.end_amdhsa_kernel
	.text
.Lfunc_end0:
	.size	fft_rtc_back_len2040_factors_17_4_3_10_wgs_170_tpt_170_halfLds_sp_op_CI_CI_unitstride_sbrr_R2C_dirReg, .Lfunc_end0-fft_rtc_back_len2040_factors_17_4_3_10_wgs_170_tpt_170_halfLds_sp_op_CI_CI_unitstride_sbrr_R2C_dirReg
                                        ; -- End function
	.section	.AMDGPU.csdata,"",@progbits
; Kernel info:
; codeLenInByte = 14408
; NumSgprs: 41
; NumVgprs: 201
; ScratchSize: 0
; MemoryBound: 0
; FloatMode: 240
; IeeeMode: 1
; LDSByteSize: 0 bytes/workgroup (compile time only)
; SGPRBlocks: 5
; VGPRBlocks: 25
; NumSGPRsForWavesPerEU: 41
; NumVGPRsForWavesPerEU: 201
; Occupancy: 7
; WaveLimiterHint : 1
; COMPUTE_PGM_RSRC2:SCRATCH_EN: 0
; COMPUTE_PGM_RSRC2:USER_SGPR: 2
; COMPUTE_PGM_RSRC2:TRAP_HANDLER: 0
; COMPUTE_PGM_RSRC2:TGID_X_EN: 1
; COMPUTE_PGM_RSRC2:TGID_Y_EN: 0
; COMPUTE_PGM_RSRC2:TGID_Z_EN: 0
; COMPUTE_PGM_RSRC2:TIDIG_COMP_CNT: 0
	.text
	.p2alignl 7, 3214868480
	.fill 96, 4, 3214868480
	.type	__hip_cuid_490ae0dc37eed28b,@object ; @__hip_cuid_490ae0dc37eed28b
	.section	.bss,"aw",@nobits
	.globl	__hip_cuid_490ae0dc37eed28b
__hip_cuid_490ae0dc37eed28b:
	.byte	0                               ; 0x0
	.size	__hip_cuid_490ae0dc37eed28b, 1

	.ident	"AMD clang version 19.0.0git (https://github.com/RadeonOpenCompute/llvm-project roc-6.4.0 25133 c7fe45cf4b819c5991fe208aaa96edf142730f1d)"
	.section	".note.GNU-stack","",@progbits
	.addrsig
	.addrsig_sym __hip_cuid_490ae0dc37eed28b
	.amdgpu_metadata
---
amdhsa.kernels:
  - .args:
      - .actual_access:  read_only
        .address_space:  global
        .offset:         0
        .size:           8
        .value_kind:     global_buffer
      - .offset:         8
        .size:           8
        .value_kind:     by_value
      - .actual_access:  read_only
        .address_space:  global
        .offset:         16
        .size:           8
        .value_kind:     global_buffer
      - .actual_access:  read_only
        .address_space:  global
        .offset:         24
        .size:           8
        .value_kind:     global_buffer
      - .actual_access:  read_only
        .address_space:  global
        .offset:         32
        .size:           8
        .value_kind:     global_buffer
      - .offset:         40
        .size:           8
        .value_kind:     by_value
      - .actual_access:  read_only
        .address_space:  global
        .offset:         48
        .size:           8
        .value_kind:     global_buffer
      - .actual_access:  read_only
        .address_space:  global
        .offset:         56
        .size:           8
        .value_kind:     global_buffer
      - .offset:         64
        .size:           4
        .value_kind:     by_value
      - .actual_access:  read_only
        .address_space:  global
        .offset:         72
        .size:           8
        .value_kind:     global_buffer
      - .actual_access:  read_only
        .address_space:  global
        .offset:         80
        .size:           8
        .value_kind:     global_buffer
      - .actual_access:  read_only
        .address_space:  global
        .offset:         88
        .size:           8
        .value_kind:     global_buffer
      - .actual_access:  write_only
        .address_space:  global
        .offset:         96
        .size:           8
        .value_kind:     global_buffer
    .group_segment_fixed_size: 0
    .kernarg_segment_align: 8
    .kernarg_segment_size: 104
    .language:       OpenCL C
    .language_version:
      - 2
      - 0
    .max_flat_workgroup_size: 170
    .name:           fft_rtc_back_len2040_factors_17_4_3_10_wgs_170_tpt_170_halfLds_sp_op_CI_CI_unitstride_sbrr_R2C_dirReg
    .private_segment_fixed_size: 0
    .sgpr_count:     41
    .sgpr_spill_count: 0
    .symbol:         fft_rtc_back_len2040_factors_17_4_3_10_wgs_170_tpt_170_halfLds_sp_op_CI_CI_unitstride_sbrr_R2C_dirReg.kd
    .uniform_work_group_size: 1
    .uses_dynamic_stack: false
    .vgpr_count:     201
    .vgpr_spill_count: 0
    .wavefront_size: 32
    .workgroup_processor_mode: 1
amdhsa.target:   amdgcn-amd-amdhsa--gfx1201
amdhsa.version:
  - 1
  - 2
...

	.end_amdgpu_metadata
